;; amdgpu-corpus repo=ROCm/rocFFT kind=compiled arch=gfx1201 opt=O3
	.text
	.amdgcn_target "amdgcn-amd-amdhsa--gfx1201"
	.amdhsa_code_object_version 6
	.protected	fft_rtc_back_len17_factors_17_wgs_120_tpt_1_dp_op_CI_CI_sbrc_z_xy_diag ; -- Begin function fft_rtc_back_len17_factors_17_wgs_120_tpt_1_dp_op_CI_CI_sbrc_z_xy_diag
	.globl	fft_rtc_back_len17_factors_17_wgs_120_tpt_1_dp_op_CI_CI_sbrc_z_xy_diag
	.p2align	8
	.type	fft_rtc_back_len17_factors_17_wgs_120_tpt_1_dp_op_CI_CI_sbrc_z_xy_diag,@function
fft_rtc_back_len17_factors_17_wgs_120_tpt_1_dp_op_CI_CI_sbrc_z_xy_diag: ; @fft_rtc_back_len17_factors_17_wgs_120_tpt_1_dp_op_CI_CI_sbrc_z_xy_diag
; %bb.0:
	s_load_b256 s[4:11], s[0:1], 0x8
	v_mul_u32_u24_e32 v1, 0xf10, v0
	v_add_nc_u32_e32 v2, 0x78, v0
	v_dual_mov_b32 v40, 0 :: v_dual_add_nc_u32 v3, 0xf0, v0
	v_add_nc_u32_e32 v4, 0x168, v0
	s_delay_alu instid0(VALU_DEP_4) | instskip(NEXT) | instid1(VALU_DEP_4)
	v_lshrrev_b32_e32 v6, 16, v1
	v_mul_u32_u24_e32 v1, 0xf10, v2
	v_add_nc_u32_e32 v5, 0x1e0, v0
	v_mul_u32_u24_e32 v7, 0xf10, v3
	v_add_nc_u32_e32 v19, 0x258, v0
	v_mul_lo_u16 v11, v6, 17
	v_lshrrev_b32_e32 v13, 16, v1
	v_mul_u32_u24_e32 v8, 0xf10, v4
	v_mul_u32_u24_e32 v9, 0xf10, v5
	v_lshrrev_b32_e32 v20, 16, v7
	v_sub_nc_u16 v1, v0, v11
	v_mul_u32_u24_e32 v10, 0xf10, v19
	v_lshrrev_b32_e32 v21, 16, v8
	v_lshrrev_b32_e32 v22, 16, v9
	s_wait_kmcnt 0x0
	s_load_b128 s[12:15], s[6:7], 0x8
	s_load_b128 s[16:19], s[8:9], 0x0
	v_mul_lo_u16 v7, v13, 17
	v_mul_lo_u16 v8, v20, 17
	v_lshrrev_b32_e32 v23, 16, v10
	v_mul_lo_u16 v9, v21, 17
	v_mul_lo_u16 v10, v22, 17
	v_sub_nc_u16 v2, v2, v7
	v_sub_nc_u16 v3, v3, v8
	v_and_b32_e32 v14, 0xffff, v1
	v_sub_nc_u16 v4, v4, v9
	v_sub_nc_u16 v1, v5, v10
	v_and_b32_e32 v15, 0xffff, v2
	v_and_b32_e32 v16, 0xffff, v3
	s_load_b128 s[0:3], s[0:1], 0x58
	v_and_b32_e32 v17, 0xffff, v4
	v_and_b32_e32 v24, 0xffff, v1
	s_mov_b32 s21, 0
	v_add_nc_u32_e32 v38, 0x708, v0
	s_wait_kmcnt 0x0
	s_mov_b32 s13, s21
	s_add_co_i32 s6, s12, -1
	v_mad_co_u64_u32 v[1:2], null, s16, v14, 0
	s_mul_hi_u32 s6, s6, 0x88888889
	v_mul_lo_u32 v39, s18, v6
	s_lshr_b32 s6, s6, 6
	v_mad_co_u64_u32 v[3:4], null, s16, v15, 0
	s_add_co_i32 s6, s6, 1
	v_mad_co_u64_u32 v[5:6], null, s16, v16, 0
	s_mul_i32 s6, s6, s14
	v_mad_co_u64_u32 v[7:8], null, s16, v17, 0
	s_cvt_f32_u32 s7, s6
	s_sub_co_i32 s14, 0, s6
	v_mad_co_u64_u32 v[9:10], null, s16, v24, 0
	s_delay_alu instid0(SALU_CYCLE_1)
	v_rcp_iflag_f32_e32 v11, s7
	s_load_b32 s7, s[8:9], 0x10
	s_mov_b32 s24, 0x2a9d6da3
	s_mov_b32 s25, 0xbfe58eea
	s_mov_b32 s44, 0x5d8e7cdc
	s_mov_b32 s40, 0x75d4884
	s_mov_b32 s45, 0xbfd71e95
	s_mov_b32 s41, 0x3fe7a5f6
	s_mov_b32 s22, 0x7c9e640b
	s_mov_b32 s42, 0x370991
	v_readfirstlane_b32 s12, v11
	v_lshlrev_b64_e32 v[11:12], 4, v[39:40]
	v_mul_lo_u32 v39, s18, v13
	v_mad_co_u64_u32 v[13:14], null, s17, v14, v[2:3]
	s_delay_alu instid0(VALU_DEP_4) | instskip(SKIP_2) | instid1(SALU_CYCLE_1)
	s_mul_f32 s12, s12, 0x4f7ffffe
	v_mad_co_u64_u32 v[14:15], null, s17, v15, v[4:5]
	v_mad_co_u64_u32 v[15:16], null, s17, v16, v[6:7]
	s_cvt_u32_f32 s12, s12
	s_delay_alu instid0(VALU_DEP_3) | instskip(SKIP_3) | instid1(VALU_DEP_3)
	v_mov_b32_e32 v2, v13
	s_mov_b32 s23, 0xbfeca52d
	s_mov_b32 s43, 0x3fedd6d0
	s_mul_i32 s14, s14, s12
	v_mov_b32_e32 v4, v14
	s_mul_hi_u32 s14, s12, s14
	v_lshlrev_b64_e32 v[1:2], 4, v[1:2]
	s_add_co_i32 s12, s12, s14
	v_mov_b32_e32 v6, v15
	s_mul_hi_u32 s12, ttmp9, s12
	v_lshlrev_b64_e32 v[3:4], 4, v[3:4]
	s_mul_i32 s14, s12, s6
	s_add_co_i32 s15, s12, 1
	s_sub_co_i32 s14, ttmp9, s14
	v_mad_co_u64_u32 v[16:17], null, s17, v17, v[8:9]
	s_sub_co_i32 s19, s14, s6
	s_cmp_ge_u32 s14, s6
	v_lshlrev_b64_e32 v[5:6], 4, v[5:6]
	s_cselect_b32 s12, s15, s12
	s_wait_alu 0xfffe
	s_cselect_b32 s14, s19, s14
	s_add_co_i32 s15, s12, 1
	s_cmp_ge_u32 s14, s6
	v_lshlrev_b64_e32 v[17:18], 4, v[39:40]
	s_cselect_b32 s12, s15, s12
	s_lshl_b64 s[14:15], s[4:5], 3
	s_mul_i32 s6, s12, s6
	s_add_nc_u64 s[4:5], s[8:9], s[14:15]
	s_wait_alu 0xfffe
	s_sub_co_i32 s6, ttmp9, s6
	s_load_b64 s[4:5], s[4:5], 0x0
	s_mul_hi_u32 s8, s6, 0xf0f0f0f1
	v_mul_lo_u32 v39, s18, v20
	s_lshr_b32 s8, s8, 4
	v_mov_b32_e32 v8, v16
	s_mul_i32 s8, s8, 17
	s_mov_b32 s38, 0x2b2883cd
	s_sub_co_i32 s33, s6, s8
	s_mov_b32 s8, 0xacd6c6b4
	s_wait_kmcnt 0x0
	s_mul_i32 s20, s33, s7
	v_lshlrev_b64_e32 v[13:14], 4, v[39:40]
	s_lshl_b64 s[6:7], s[20:21], 4
	v_mul_lo_u32 v39, s18, v21
	s_mov_b32 s9, 0xbfc7851a
	s_mov_b32 s36, 0x3259b75e
	;; [unrolled: 1-line block ×7, first 2 shown]
	s_mul_u64 s[4:5], s[4:5], s[12:13]
	s_mov_b32 s37, 0x3fb79ee6
	s_lshl_b64 s[4:5], s[4:5], 4
	s_mov_b32 s35, 0xbfd183b1
	s_add_nc_u64 s[0:1], s[0:1], s[4:5]
	s_mov_b32 s31, 0xbfe348c8
	s_wait_alu 0xfffe
	s_add_nc_u64 s[0:1], s[0:1], s[6:7]
	s_mov_b32 s29, 0xbfeb34fa
	v_add_co_u32 v1, vcc_lo, s0, v1
	v_add_co_ci_u32_e32 v2, vcc_lo, s1, v2, vcc_lo
	v_add_co_u32 v3, vcc_lo, s0, v3
	s_wait_alu 0xfffd
	v_add_co_ci_u32_e32 v4, vcc_lo, s1, v4, vcc_lo
	v_add_co_u32 v15, vcc_lo, s0, v5
	s_wait_alu 0xfffd
	;; [unrolled: 3-line block ×4, first 2 shown]
	v_add_co_ci_u32_e32 v6, vcc_lo, v4, v18, vcc_lo
	v_lshlrev_b64_e32 v[3:4], 4, v[7:8]
	v_mov_b32_e32 v7, v10
	v_mul_lo_u16 v17, v23, 17
	v_add_co_u32 v11, vcc_lo, v15, v13
	s_wait_alu 0xfffd
	v_add_co_ci_u32_e32 v12, vcc_lo, v16, v14, vcc_lo
	v_mad_co_u64_u32 v[7:8], null, s17, v24, v[7:8]
	v_sub_nc_u16 v10, v19, v17
	v_add_nc_u32_e32 v15, 0x2d0, v0
	v_lshlrev_b64_e32 v[13:14], 4, v[39:40]
	v_add_co_u32 v17, vcc_lo, s0, v3
	s_delay_alu instid0(VALU_DEP_4)
	v_and_b32_e32 v16, 0xffff, v10
	v_mov_b32_e32 v10, v7
	v_mul_u32_u24_e32 v8, 0xf10, v15
	s_wait_alu 0xfffd
	v_add_co_ci_u32_e32 v18, vcc_lo, s1, v4, vcc_lo
	v_mad_co_u64_u32 v[3:4], null, s16, v16, 0
	s_delay_alu instid0(VALU_DEP_3) | instskip(SKIP_3) | instid1(VALU_DEP_3)
	v_lshrrev_b32_e32 v19, 16, v8
	v_add_co_u32 v13, vcc_lo, v17, v13
	s_wait_alu 0xfffd
	v_add_co_ci_u32_e32 v14, vcc_lo, v18, v14, vcc_lo
	v_mul_lo_u16 v20, v19, 17
	v_add_nc_u32_e32 v18, 0x348, v0
	v_mul_lo_u32 v39, s18, v22
	v_lshlrev_b64_e32 v[7:8], 4, v[9:10]
	s_mov_b32 s27, 0xbfef7484
	v_sub_nc_u16 v17, v15, v20
	v_mad_co_u64_u32 v[15:16], null, s17, v16, v[4:5]
	v_mul_u32_u24_e32 v4, 0xf10, v18
	s_delay_alu instid0(VALU_DEP_4) | instskip(SKIP_2) | instid1(VALU_DEP_4)
	v_add_co_u32 v16, vcc_lo, s0, v7
	v_lshlrev_b64_e32 v[9:10], 4, v[39:40]
	v_mul_lo_u32 v39, s18, v23
	v_lshrrev_b32_e32 v21, 16, v4
	v_dual_mov_b32 v4, v15 :: v_dual_and_b32 v17, 0xffff, v17
	s_wait_alu 0xfffd
	v_add_co_ci_u32_e32 v20, vcc_lo, s1, v8, vcc_lo
	s_delay_alu instid0(VALU_DEP_3) | instskip(NEXT) | instid1(VALU_DEP_3)
	v_mul_lo_u16 v22, v21, 17
	v_mad_co_u64_u32 v[7:8], null, s16, v17, 0
	v_add_co_u32 v15, vcc_lo, v16, v9
	s_wait_alu 0xfffd
	v_add_co_ci_u32_e32 v16, vcc_lo, v20, v10, vcc_lo
	v_lshlrev_b64_e32 v[9:10], 4, v[39:40]
	v_sub_nc_u16 v20, v18, v22
	v_add_nc_u32_e32 v22, 0x3c0, v0
	v_lshlrev_b64_e32 v[3:4], 4, v[3:4]
	v_mul_lo_u32 v39, s18, v19
	s_mov_b32 s47, 0x3fd71e95
	v_mad_co_u64_u32 v[17:18], null, s17, v17, v[8:9]
	v_mul_u32_u24_e32 v8, 0xf10, v22
	v_and_b32_e32 v20, 0xffff, v20
	v_add_co_u32 v18, vcc_lo, s0, v3
	s_wait_alu 0xfffd
	v_add_co_ci_u32_e32 v23, vcc_lo, s1, v4, vcc_lo
	v_lshrrev_b32_e32 v24, 16, v8
	v_mad_co_u64_u32 v[3:4], null, s16, v20, 0
	v_mov_b32_e32 v8, v17
	v_add_co_u32 v17, vcc_lo, v18, v9
	s_delay_alu instid0(VALU_DEP_4)
	v_mul_lo_u16 v19, v24, 17
	s_wait_alu 0xfffd
	v_add_co_ci_u32_e32 v18, vcc_lo, v23, v10, vcc_lo
	v_add_nc_u32_e32 v23, 0x438, v0
	v_lshlrev_b64_e32 v[7:8], 4, v[7:8]
	v_sub_nc_u16 v22, v22, v19
	v_mad_co_u64_u32 v[19:20], null, s17, v20, v[4:5]
	s_delay_alu instid0(VALU_DEP_4)
	v_mul_u32_u24_e32 v4, 0xf10, v23
	v_lshlrev_b64_e32 v[9:10], 4, v[39:40]
	v_mul_lo_u32 v39, s18, v21
	v_and_b32_e32 v22, 0xffff, v22
	v_add_co_u32 v20, vcc_lo, s0, v7
	v_lshrrev_b32_e32 v26, 16, v4
	s_wait_alu 0xfffd
	v_add_co_ci_u32_e32 v25, vcc_lo, s1, v8, vcc_lo
	v_mov_b32_e32 v4, v19
	v_mad_co_u64_u32 v[7:8], null, s16, v22, 0
	v_add_co_u32 v19, vcc_lo, v20, v9
	v_mul_lo_u16 v21, v26, 17
	s_wait_alu 0xfffd
	v_add_co_ci_u32_e32 v20, vcc_lo, v25, v10, vcc_lo
	v_add_nc_u32_e32 v25, 0x4b0, v0
	v_lshlrev_b64_e32 v[9:10], 4, v[39:40]
	v_sub_nc_u16 v23, v23, v21
	v_lshlrev_b64_e32 v[3:4], 4, v[3:4]
	v_mul_lo_u32 v39, s18, v24
	s_mov_b32 s46, s44
	s_mov_b32 s55, 0x3fe58eea
	v_mad_co_u64_u32 v[21:22], null, s17, v22, v[8:9]
	v_mul_u32_u24_e32 v8, 0xf10, v25
	v_and_b32_e32 v23, 0xffff, v23
	v_add_co_u32 v22, vcc_lo, s0, v3
	s_wait_alu 0xfffd
	v_add_co_ci_u32_e32 v27, vcc_lo, s1, v4, vcc_lo
	v_lshrrev_b32_e32 v28, 16, v8
	v_mov_b32_e32 v8, v21
	v_mad_co_u64_u32 v[3:4], null, s16, v23, 0
	v_add_co_u32 v21, vcc_lo, v22, v9
	s_delay_alu instid0(VALU_DEP_4)
	v_mul_lo_u16 v24, v28, 17
	s_wait_alu 0xfffd
	v_add_co_ci_u32_e32 v22, vcc_lo, v27, v10, vcc_lo
	v_lshlrev_b64_e32 v[7:8], 4, v[7:8]
	v_lshlrev_b64_e32 v[9:10], 4, v[39:40]
	v_sub_nc_u16 v25, v25, v24
	v_mad_co_u64_u32 v[23:24], null, s17, v23, v[4:5]
	v_add_nc_u32_e32 v27, 0x528, v0
	v_mul_lo_u32 v39, s18, v26
	s_delay_alu instid0(VALU_DEP_4) | instskip(SKIP_1) | instid1(VALU_DEP_4)
	v_and_b32_e32 v25, 0xffff, v25
	v_add_co_u32 v24, vcc_lo, s0, v7
	v_mul_u32_u24_e32 v4, 0xf10, v27
	s_wait_alu 0xfffd
	v_add_co_ci_u32_e32 v29, vcc_lo, s1, v8, vcc_lo
	v_mad_co_u64_u32 v[7:8], null, s16, v25, 0
	s_delay_alu instid0(VALU_DEP_3)
	v_lshrrev_b32_e32 v30, 16, v4
	v_mov_b32_e32 v4, v23
	v_add_co_u32 v23, vcc_lo, v24, v9
	s_wait_alu 0xfffd
	v_add_co_ci_u32_e32 v24, vcc_lo, v29, v10, vcc_lo
	v_mul_lo_u16 v26, v30, 17
	v_lshlrev_b64_e32 v[9:10], 4, v[39:40]
	v_add_nc_u32_e32 v29, 0x5a0, v0
	v_lshlrev_b64_e32 v[3:4], 4, v[3:4]
	v_mul_lo_u32 v39, s18, v28
	v_sub_nc_u16 v27, v27, v26
	s_mov_b32 s49, 0x3feca52d
	v_mad_co_u64_u32 v[25:26], null, s17, v25, v[8:9]
	v_mul_u32_u24_e32 v32, 0xf10, v29
	s_delay_alu instid0(VALU_DEP_3)
	v_and_b32_e32 v27, 0xffff, v27
	v_add_co_u32 v26, vcc_lo, s0, v3
	s_wait_alu 0xfffd
	v_add_co_ci_u32_e32 v31, vcc_lo, s1, v4, vcc_lo
	v_mov_b32_e32 v8, v25
	v_lshrrev_b32_e32 v32, 16, v32
	v_mad_co_u64_u32 v[3:4], null, s16, v27, 0
	v_add_co_u32 v25, vcc_lo, v26, v9
	s_wait_alu 0xfffd
	v_add_co_ci_u32_e32 v26, vcc_lo, v31, v10, vcc_lo
	v_mul_lo_u16 v31, v32, 17
	v_lshlrev_b64_e32 v[7:8], 4, v[7:8]
	v_mad_co_u64_u32 v[27:28], null, s17, v27, v[4:5]
	v_lshlrev_b64_e32 v[9:10], 4, v[39:40]
	s_delay_alu instid0(VALU_DEP_4)
	v_sub_nc_u16 v4, v29, v31
	v_mul_lo_u32 v39, s18, v30
	v_add_co_u32 v28, vcc_lo, s0, v7
	s_wait_alu 0xfffd
	v_add_co_ci_u32_e32 v29, vcc_lo, s1, v8, vcc_lo
	v_dual_mov_b32 v4, v27 :: v_dual_and_b32 v33, 0xffff, v4
	s_delay_alu instid0(VALU_DEP_3) | instskip(SKIP_1) | instid1(VALU_DEP_3)
	v_add_co_u32 v27, vcc_lo, v28, v9
	s_wait_alu 0xfffd
	v_add_co_ci_u32_e32 v28, vcc_lo, v29, v10, vcc_lo
	s_delay_alu instid0(VALU_DEP_3)
	v_mad_co_u64_u32 v[7:8], null, s16, v33, 0
	v_lshlrev_b64_e32 v[9:10], 4, v[39:40]
	v_lshlrev_b64_e32 v[3:4], 4, v[3:4]
	v_mul_lo_u32 v39, s18, v32
	s_mov_b32 s61, 0x3fefdd0d
	s_mov_b32 s51, 0x3feec746
	;; [unrolled: 1-line block ×3, first 2 shown]
	s_delay_alu instid0(VALU_DEP_4) | instskip(SKIP_4) | instid1(VALU_DEP_2)
	v_mad_co_u64_u32 v[29:30], null, s17, v33, v[8:9]
	v_add_nc_u32_e32 v31, 0x618, v0
	v_add_co_u32 v30, vcc_lo, s0, v3
	s_mov_b32 s53, 0x3fe0d888
	s_mov_b32 s57, 0x3fc7851a
	v_mul_u32_u24_e32 v34, 0xf10, v31
	s_mov_b32 s54, s24
	s_mov_b32 s48, s22
	;; [unrolled: 1-line block ×3, first 2 shown]
	s_delay_alu instid0(VALU_DEP_1) | instskip(SKIP_1) | instid1(VALU_DEP_2)
	v_lshrrev_b32_e32 v35, 16, v34
	v_add_nc_u32_e32 v34, 0x690, v0
	v_mul_lo_u16 v36, v35, 17
	s_delay_alu instid0(VALU_DEP_2) | instskip(NEXT) | instid1(VALU_DEP_2)
	v_mul_u32_u24_e32 v37, 0xf10, v34
	v_sub_nc_u16 v8, v31, v36
	s_delay_alu instid0(VALU_DEP_2) | instskip(SKIP_2) | instid1(VALU_DEP_3)
	v_lshrrev_b32_e32 v36, 16, v37
	s_wait_alu 0xfffd
	v_add_co_ci_u32_e32 v31, vcc_lo, s1, v4, vcc_lo
	v_and_b32_e32 v33, 0xffff, v8
	s_delay_alu instid0(VALU_DEP_3) | instskip(SKIP_2) | instid1(VALU_DEP_4)
	v_mul_lo_u16 v37, v36, 17
	v_mov_b32_e32 v8, v29
	v_add_co_u32 v29, vcc_lo, v30, v9
	v_mad_co_u64_u32 v[3:4], null, s16, v33, 0
	s_delay_alu instid0(VALU_DEP_4)
	v_sub_nc_u16 v32, v34, v37
	s_wait_alu 0xfffd
	v_add_co_ci_u32_e32 v30, vcc_lo, v31, v10, vcc_lo
	v_lshlrev_b64_e32 v[7:8], 4, v[7:8]
	v_lshlrev_b64_e32 v[9:10], 4, v[39:40]
	v_and_b32_e32 v37, 0xffff, v32
	v_mad_co_u64_u32 v[33:34], null, s17, v33, v[4:5]
	v_mul_lo_u32 v39, s18, v35
	v_add_co_u32 v34, vcc_lo, s0, v7
	s_delay_alu instid0(VALU_DEP_4)
	v_mad_co_u64_u32 v[31:32], null, s16, v37, 0
	s_wait_alu 0xfffd
	v_add_co_ci_u32_e32 v41, vcc_lo, s1, v8, vcc_lo
	v_mov_b32_e32 v4, v33
	v_add_co_u32 v33, vcc_lo, v34, v9
	s_wait_alu 0xfffd
	s_delay_alu instid0(VALU_DEP_3) | instskip(SKIP_4) | instid1(VALU_DEP_4)
	v_add_co_ci_u32_e32 v34, vcc_lo, v41, v10, vcc_lo
	v_mov_b32_e32 v7, v32
	v_mul_u32_u24_e32 v32, 0xf10, v38
	v_or_b32_e32 v10, 0x780, v0
	v_lshlrev_b64_e32 v[3:4], 4, v[3:4]
	v_mad_co_u64_u32 v[7:8], null, s17, v37, v[7:8]
	s_delay_alu instid0(VALU_DEP_4) | instskip(SKIP_1) | instid1(VALU_DEP_4)
	v_lshrrev_b32_e32 v43, 16, v32
	v_lshlrev_b64_e32 v[8:9], 4, v[39:40]
	v_add_co_u32 v37, vcc_lo, s0, v3
	v_mul_lo_u32 v39, s18, v36
	s_delay_alu instid0(VALU_DEP_4) | instskip(SKIP_2) | instid1(VALU_DEP_3)
	v_mul_lo_u16 v35, v43, 17
	v_mov_b32_e32 v32, v7
	v_mul_u32_u24_e32 v7, 0xf10, v10
	v_sub_nc_u16 v35, v38, v35
	s_wait_alu 0xfffd
	v_add_co_ci_u32_e32 v38, vcc_lo, s1, v4, vcc_lo
	s_delay_alu instid0(VALU_DEP_3) | instskip(SKIP_3) | instid1(VALU_DEP_4)
	v_lshrrev_b32_e32 v44, 16, v7
	v_lshlrev_b64_e32 v[3:4], 4, v[31:32]
	v_and_b32_e32 v41, 0xffff, v35
	v_add_co_u32 v35, vcc_lo, v37, v8
	v_mul_lo_u16 v42, v44, 17
	s_wait_alu 0xfffd
	v_add_co_ci_u32_e32 v36, vcc_lo, v38, v9, vcc_lo
	v_mad_co_u64_u32 v[31:32], null, s16, v41, 0
	s_delay_alu instid0(VALU_DEP_3)
	v_sub_nc_u16 v9, v10, v42
	v_lshlrev_b64_e32 v[7:8], 4, v[39:40]
	v_add_co_u32 v10, vcc_lo, s0, v3
	s_wait_alu 0xfffd
	v_add_co_ci_u32_e32 v4, vcc_lo, s1, v4, vcc_lo
	v_and_b32_e32 v39, 0xffff, v9
	v_mov_b32_e32 v3, v32
	v_add_co_u32 v37, vcc_lo, v10, v7
	s_wait_alu 0xfffd
	v_add_co_ci_u32_e32 v38, vcc_lo, v4, v8, vcc_lo
	v_mad_co_u64_u32 v[9:10], null, s16, v39, 0
	v_mad_co_u64_u32 v[3:4], null, s17, v41, v[3:4]
	s_delay_alu instid0(VALU_DEP_1)
	v_dual_mov_b32 v7, v10 :: v_dual_mov_b32 v32, v3
	global_load_b128 v[1:4], v[1:2], off
	v_mad_co_u64_u32 v[41:42], null, s17, v39, v[7:8]
	global_load_b128 v[5:8], v[5:6], off
	v_mul_lo_u32 v39, s18, v43
	v_lshlrev_b64_e32 v[31:32], 4, v[31:32]
	s_mov_b32 s16, 0x923c349f
	s_mov_b32 s17, 0xbfeec746
	s_wait_alu 0xfffe
	s_mov_b32 s50, s16
	v_mov_b32_e32 v10, v41
	v_add_co_u32 v31, vcc_lo, s0, v31
	v_lshlrev_b64_e32 v[41:42], 4, v[39:40]
	v_mul_lo_u32 v39, s18, v44
	s_wait_alu 0xfffd
	v_add_co_ci_u32_e32 v32, vcc_lo, s1, v32, vcc_lo
	v_lshlrev_b64_e32 v[9:10], 4, v[9:10]
	s_mov_b32 s18, 0xeb564b22
	v_add_co_u32 v41, vcc_lo, v31, v41
	s_wait_alu 0xfffd
	v_add_co_ci_u32_e32 v42, vcc_lo, v32, v42, vcc_lo
	v_lshlrev_b64_e32 v[31:32], 4, v[39:40]
	v_add_co_u32 v9, vcc_lo, s0, v9
	s_wait_alu 0xfffd
	v_add_co_ci_u32_e32 v10, vcc_lo, s1, v10, vcc_lo
	v_lshl_add_u32 v39, v0, 4, 0
	s_delay_alu instid0(VALU_DEP_3) | instskip(SKIP_1) | instid1(VALU_DEP_3)
	v_add_co_u32 v43, vcc_lo, v9, v31
	s_wait_alu 0xfffd
	v_add_co_ci_u32_e32 v44, vcc_lo, v10, v32, vcc_lo
	global_load_b128 v[9:12], v[11:12], off
	s_add_nc_u64 s[0:1], s[10:11], s[14:15]
	s_mov_b32 s14, 0x6c9a05f6
	s_mov_b32 s19, 0xbfefdd0d
	;; [unrolled: 1-line block ×3, first 2 shown]
	s_wait_alu 0xfffe
	s_mov_b32 s60, s18
	s_mov_b32 s58, s14
	s_wait_loadcnt 0x2
	ds_store_b128 v39, v[1:4]
	s_clause 0x1
	global_load_b128 v[1:4], v[13:14], off
	global_load_b128 v[13:16], v[15:16], off
	s_wait_loadcnt 0x3
	ds_store_b128 v39, v[5:8] offset:1920
	s_clause 0x1
	global_load_b128 v[5:8], v[17:18], off
	global_load_b128 v[17:20], v[19:20], off
	s_wait_loadcnt 0x4
	ds_store_b128 v39, v[9:12] offset:3840
	global_load_b128 v[9:12], v[21:22], off
	s_wait_loadcnt 0x4
	ds_store_b128 v39, v[1:4] offset:5760
	s_clause 0x1
	global_load_b128 v[1:4], v[23:24], off
	global_load_b128 v[21:24], v[25:26], off
	s_wait_loadcnt 0x5
	ds_store_b128 v39, v[13:16] offset:7680
	s_clause 0x1
	global_load_b128 v[13:16], v[27:28], off
	;; [unrolled: 5-line block ×4, first 2 shown]
	global_load_b128 v[33:36], v[41:42], off
	global_load_b128 v[41:44], v[43:44], off
	s_clause 0x1
	s_load_b128 s[4:7], s[10:11], 0x0
	s_load_b64 s[0:1], s[0:1], 0x0
	s_wait_kmcnt 0x0
	s_load_b32 s7, s[10:11], 0x10
	s_mov_b32 s10, 0x4363dd80
	s_mov_b32 s11, 0xbfe0d888
	;; [unrolled: 1-line block ×3, first 2 shown]
	s_mul_i32 s20, s33, s6
	s_mul_u64 s[0:1], s[0:1], s[12:13]
	s_wait_alu 0xfffe
	s_lshl_b64 s[0:1], s[0:1], 4
	s_wait_alu 0xfffe
	s_add_nc_u64 s[0:1], s[2:3], s[0:1]
	s_lshl_b64 s[2:3], s[20:21], 4
	s_wait_loadcnt 0x9
	ds_store_b128 v39, v[9:12] offset:13440
	v_mul_u32_u24_e32 v9, 0x223, v0
	s_wait_alu 0xfffe
	s_add_nc_u64 s[0:1], s[0:1], s[2:3]
	s_delay_alu instid0(VALU_DEP_1) | instskip(NEXT) | instid1(VALU_DEP_1)
	v_lshrrev_b32_e32 v255, 16, v9
	v_mul_lo_u16 v9, 0x78, v255
	s_delay_alu instid0(VALU_DEP_1) | instskip(NEXT) | instid1(VALU_DEP_1)
	v_sub_nc_u16 v189, v0, v9
	v_mul_lo_u16 v0, v189, 17
	s_delay_alu instid0(VALU_DEP_1) | instskip(NEXT) | instid1(VALU_DEP_1)
	v_and_b32_e32 v0, 0xffff, v0
	v_lshlrev_b32_e32 v0, 4, v0
	s_delay_alu instid0(VALU_DEP_1)
	v_add_nc_u32_e32 v190, 0, v0
	scratch_store_b32 off, v0, off          ; 4-byte Folded Spill
	s_wait_loadcnt 0x8
	ds_store_b128 v39, v[1:4] offset:15360
	s_wait_loadcnt 0x7
	ds_store_b128 v39, v[21:24] offset:17280
	;; [unrolled: 2-line block ×9, first 2 shown]
	global_wb scope:SCOPE_SE
	s_wait_storecnt_dscnt 0x0
	s_wait_kmcnt 0x0
	s_barrier_signal -1
	s_barrier_wait -1
	global_inv scope:SCOPE_SE
	ds_load_b128 v[0:3], v190
	ds_load_b128 v[4:7], v190 offset:16
	ds_load_b128 v[8:11], v190 offset:32
	;; [unrolled: 1-line block ×3, first 2 shown]
	s_wait_dscnt 0x2
	v_add_f64_e32 v[18:19], v[2:3], v[6:7]
	v_add_f64_e32 v[16:17], v[0:1], v[4:5]
	s_wait_dscnt 0x1
	s_delay_alu instid0(VALU_DEP_2) | instskip(NEXT) | instid1(VALU_DEP_2)
	v_add_f64_e32 v[18:19], v[18:19], v[10:11]
	v_add_f64_e32 v[16:17], v[16:17], v[8:9]
	s_wait_dscnt 0x0
	s_delay_alu instid0(VALU_DEP_2) | instskip(NEXT) | instid1(VALU_DEP_2)
	v_add_f64_e32 v[26:27], v[18:19], v[14:15]
	v_add_f64_e32 v[24:25], v[16:17], v[12:13]
	ds_load_b128 v[16:19], v190 offset:64
	ds_load_b128 v[20:23], v190 offset:80
	s_wait_dscnt 0x1
	v_add_f64_e32 v[26:27], v[26:27], v[18:19]
	v_add_f64_e32 v[24:25], v[24:25], v[16:17]
	s_wait_dscnt 0x0
	s_delay_alu instid0(VALU_DEP_2) | instskip(NEXT) | instid1(VALU_DEP_2)
	v_add_f64_e32 v[34:35], v[26:27], v[22:23]
	v_add_f64_e32 v[32:33], v[24:25], v[20:21]
	ds_load_b128 v[24:27], v190 offset:96
	ds_load_b128 v[28:31], v190 offset:112
	s_wait_dscnt 0x1
	;; [unrolled: 9-line block ×3, first 2 shown]
	v_add_f64_e32 v[97:98], v[34:35], v[38:39]
	v_add_f64_e64 v[99:100], v[34:35], -v[38:39]
	v_add_f64_e32 v[45:46], v[45:46], v[34:35]
	v_add_f64_e32 v[43:44], v[41:42], v[32:33]
	;; [unrolled: 1-line block ×3, first 2 shown]
	v_add_f64_e64 v[32:33], v[32:33], -v[36:37]
	v_mul_f64_e32 v[147:148], s[42:43], v[97:98]
	v_mul_f64_e32 v[145:146], s[46:47], v[99:100]
	;; [unrolled: 1-line block ×6, first 2 shown]
	v_add_f64_e32 v[38:39], v[45:46], v[38:39]
	v_add_f64_e32 v[51:52], v[43:44], v[36:37]
	ds_load_b128 v[43:46], v190 offset:160
	ds_load_b128 v[47:50], v190 offset:176
	s_wait_dscnt 0x1
	v_add_f64_e32 v[105:106], v[30:31], v[45:46]
	v_add_f64_e64 v[107:108], v[30:31], -v[45:46]
	v_add_f64_e32 v[34:35], v[28:29], v[43:44]
	v_add_f64_e64 v[36:37], v[28:29], -v[43:44]
	s_wait_dscnt 0x0
	v_add_f64_e32 v[109:110], v[26:27], v[49:50]
	v_add_f64_e64 v[111:112], v[26:27], -v[49:50]
	v_add_f64_e32 v[30:31], v[38:39], v[45:46]
	v_add_f64_e32 v[28:29], v[51:52], v[43:44]
	;; [unrolled: 1-line block ×3, first 2 shown]
	v_add_f64_e64 v[43:44], v[24:25], -v[47:48]
	v_mul_f64_e32 v[139:140], s[38:39], v[105:106]
	v_mul_f64_e32 v[137:138], s[48:49], v[107:108]
	;; [unrolled: 1-line block ×12, first 2 shown]
	v_add_f64_e32 v[49:50], v[30:31], v[49:50]
	v_add_f64_e32 v[51:52], v[28:29], v[47:48]
	ds_load_b128 v[24:27], v190 offset:192
	ds_load_b128 v[28:31], v190 offset:208
	s_wait_dscnt 0x1
	v_add_f64_e32 v[125:126], v[22:23], v[26:27]
	v_add_f64_e64 v[135:136], v[22:23], -v[26:27]
	v_add_f64_e32 v[45:46], v[20:21], v[24:25]
	v_add_f64_e64 v[47:48], v[20:21], -v[24:25]
	s_wait_dscnt 0x0
	v_add_f64_e32 v[141:142], v[18:19], v[30:31]
	v_add_f64_e64 v[143:144], v[18:19], -v[30:31]
	v_add_f64_e32 v[22:23], v[49:50], v[26:27]
	v_add_f64_e32 v[20:21], v[51:52], v[24:25]
	;; [unrolled: 1-line block ×3, first 2 shown]
	v_add_f64_e64 v[51:52], v[16:17], -v[28:29]
	v_mul_f64_e32 v[129:130], s[28:29], v[125:126]
	v_mul_f64_e32 v[127:128], s[52:53], v[135:136]
	;; [unrolled: 1-line block ×10, first 2 shown]
	v_add_f64_e32 v[26:27], v[22:23], v[30:31]
	v_add_f64_e32 v[24:25], v[20:21], v[28:29]
	ds_load_b128 v[16:19], v190 offset:224
	ds_load_b128 v[20:23], v190 offset:240
	s_wait_dscnt 0x1
	v_add_f64_e32 v[149:150], v[14:15], v[18:19]
	v_add_f64_e64 v[151:152], v[14:15], -v[18:19]
	s_wait_dscnt 0x0
	v_add_f64_e32 v[57:58], v[8:9], v[20:21]
	v_add_f64_e32 v[153:154], v[10:11], v[22:23]
	v_add_f64_e64 v[59:60], v[8:9], -v[20:21]
	v_add_f64_e64 v[155:156], v[10:11], -v[22:23]
	ds_load_b128 v[8:11], v190 offset:256
	v_add_f64_e32 v[53:54], v[12:13], v[16:17]
	v_add_f64_e64 v[55:56], v[12:13], -v[16:17]
	v_add_f64_e32 v[14:15], v[26:27], v[18:19]
	v_add_f64_e32 v[12:13], v[24:25], v[16:17]
	s_wait_dscnt 0x0
	v_add_f64_e64 v[16:17], v[6:7], -v[10:11]
	v_add_f64_e32 v[18:19], v[4:5], v[8:9]
	v_mul_f64_e32 v[167:168], s[26:27], v[149:150]
	v_mul_f64_e32 v[231:232], s[50:51], v[151:152]
	;; [unrolled: 1-line block ×6, first 2 shown]
	v_add_f64_e32 v[14:15], v[14:15], v[22:23]
	v_add_f64_e32 v[12:13], v[12:13], v[20:21]
	;; [unrolled: 1-line block ×3, first 2 shown]
	v_add_f64_e64 v[22:23], v[4:5], -v[8:9]
	v_mul_f64_e32 v[24:25], s[16:17], v[16:17]
	v_mul_f64_e32 v[26:27], s[14:15], v[16:17]
	;; [unrolled: 1-line block ×3, first 2 shown]
	v_add_f64_e32 v[6:7], v[14:15], v[10:11]
	v_mul_f64_e32 v[10:11], s[24:25], v[16:17]
	v_add_f64_e32 v[4:5], v[12:13], v[8:9]
	v_mul_f64_e32 v[8:9], s[44:45], v[16:17]
	v_mul_f64_e32 v[61:62], s[40:41], v[20:21]
	;; [unrolled: 1-line block ×6, first 2 shown]
	v_fma_f64 v[73:74], v[18:19], s[34:35], v[24:25]
	v_fma_f64 v[24:25], v[18:19], s[34:35], -v[24:25]
	v_fma_f64 v[75:76], v[18:19], s[30:31], v[26:27]
	v_fma_f64 v[26:27], v[18:19], s[30:31], -v[26:27]
	v_fma_f64 v[77:78], v[18:19], s[28:29], v[28:29]
	v_fma_f64 v[28:29], v[18:19], s[28:29], -v[28:29]
	v_mul_f64_e32 v[69:70], s[36:37], v[20:21]
	v_mul_f64_e32 v[81:82], s[34:35], v[20:21]
	;; [unrolled: 1-line block ×4, first 2 shown]
	v_fma_f64 v[65:66], v[18:19], s[40:41], v[10:11]
	v_fma_f64 v[10:11], v[18:19], s[40:41], -v[10:11]
	v_fma_f64 v[30:31], v[18:19], s[42:43], v[8:9]
	v_fma_f64 v[8:9], v[18:19], s[42:43], -v[8:9]
	v_fma_f64 v[91:92], v[22:23], s[24:25], v[61:62]
	v_fma_f64 v[67:68], v[18:19], s[38:39], v[12:13]
	v_fma_f64 v[12:13], v[18:19], s[38:39], -v[12:13]
	v_fma_f64 v[71:72], v[18:19], s[36:37], v[14:15]
	v_fma_f64 v[14:15], v[18:19], s[36:37], -v[14:15]
	;; [unrolled: 2-line block ×3, first 2 shown]
	v_mul_f64_e32 v[18:19], s[42:43], v[20:21]
	v_fma_f64 v[95:96], v[22:23], s[22:23], v[63:64]
	v_mul_f64_e32 v[20:21], s[26:27], v[20:21]
	v_fma_f64 v[115:116], v[22:23], s[18:19], v[69:70]
	v_fma_f64 v[89:90], v[22:23], s[54:55], v[61:62]
	v_fma_f64 v[93:94], v[22:23], s[48:49], v[63:64]
	v_fma_f64 v[113:114], v[22:23], s[60:61], v[69:70]
	v_fma_f64 v[117:118], v[22:23], s[50:51], v[81:82]
	v_fma_f64 v[81:82], v[22:23], s[16:17], v[81:82]
	v_fma_f64 v[119:120], v[22:23], s[58:59], v[83:84]
	v_fma_f64 v[83:84], v[22:23], s[14:15], v[83:84]
	v_fma_f64 v[121:122], v[22:23], s[52:53], v[85:86]
	v_fma_f64 v[85:86], v[22:23], s[10:11], v[85:86]
	v_add_f64_e32 v[197:198], v[0:1], v[73:74]
	v_add_f64_e32 v[24:25], v[0:1], v[24:25]
	v_add_f64_e32 v[203:204], v[0:1], v[75:76]
	v_add_f64_e32 v[207:208], v[0:1], v[26:27]
	v_add_f64_e32 v[211:212], v[0:1], v[77:78]
	v_add_f64_e32 v[215:216], v[0:1], v[28:29]
	v_mul_f64_e32 v[73:74], s[22:23], v[151:152]
	v_mul_f64_e32 v[75:76], s[38:39], v[149:150]
	;; [unrolled: 1-line block ×5, first 2 shown]
	v_add_f64_e32 v[10:11], v[0:1], v[10:11]
	v_add_f64_e32 v[8:9], v[0:1], v[8:9]
	;; [unrolled: 1-line block ×3, first 2 shown]
	v_mul_f64_e32 v[67:68], s[24:25], v[155:156]
	v_add_f64_e32 v[193:194], v[0:1], v[71:72]
	v_add_f64_e32 v[159:160], v[0:1], v[14:15]
	;; [unrolled: 1-line block ×4, first 2 shown]
	v_fma_f64 v[87:88], v[22:23], s[46:47], v[18:19]
	v_fma_f64 v[18:19], v[22:23], s[44:45], v[18:19]
	v_fma_f64 v[123:124], v[22:23], s[56:57], v[20:21]
	v_fma_f64 v[20:21], v[22:23], s[8:9], v[20:21]
	v_add_f64_e32 v[22:23], v[0:1], v[30:31]
	v_mul_f64_e32 v[71:72], s[40:41], v[153:154]
	v_add_f64_e32 v[165:166], v[2:3], v[93:94]
	v_add_f64_e32 v[195:196], v[2:3], v[113:114]
	;; [unrolled: 1-line block ×8, first 2 shown]
	v_mul_f64_e32 v[79:80], s[36:37], v[141:142]
	v_mul_f64_e32 v[81:82], s[16:17], v[135:136]
	;; [unrolled: 1-line block ×9, first 2 shown]
	scratch_store_b64 off, v[10:11], off offset:28 ; 8-byte Folded Spill
	v_add_f64_e32 v[10:11], v[2:3], v[91:92]
	scratch_store_b64 off, v[8:9], off offset:4 ; 8-byte Folded Spill
	v_mul_f64_e32 v[91:92], s[28:29], v[105:106]
	v_add_f64_e32 v[30:31], v[2:3], v[87:88]
	v_add_f64_e32 v[8:9], v[2:3], v[18:19]
	;; [unrolled: 1-line block ×5, first 2 shown]
	v_mul_f64_e32 v[87:88], s[30:31], v[109:110]
	v_mul_f64_e32 v[89:90], s[10:11], v[107:108]
	;; [unrolled: 1-line block ×3, first 2 shown]
	v_fma_f64 v[20:21], v[53:54], s[34:35], v[231:232]
	scratch_store_b64 off, v[10:11], off offset:20 ; 8-byte Folded Spill
	v_add_f64_e32 v[10:11], v[0:1], v[12:13]
	v_fma_f64 v[12:13], v[53:54], s[30:31], v[117:118]
	scratch_store_b64 off, v[10:11], off offset:44 ; 8-byte Folded Spill
	v_add_f64_e32 v[10:11], v[2:3], v[95:96]
	scratch_store_b64 off, v[8:9], off offset:12 ; 8-byte Folded Spill
	v_add_f64_e32 v[8:9], v[0:1], v[65:66]
	v_fma_f64 v[0:1], v[57:58], s[40:41], v[67:68]
	v_mul_f64_e32 v[95:96], s[26:27], v[97:98]
	scratch_store_b64 off, v[10:11], off offset:36 ; 8-byte Folded Spill
	v_add_f64_e32 v[10:11], v[2:3], v[115:116]
	v_fma_f64 v[2:3], v[59:60], s[54:55], v[71:72]
	v_add_f64_e32 v[0:1], v[0:1], v[22:23]
	v_mul_f64_e32 v[115:116], s[36:37], v[153:154]
	v_fma_f64 v[22:23], v[59:60], s[10:11], v[28:29]
	scratch_store_b64 off, v[10:11], off offset:52 ; 8-byte Folded Spill
	v_fma_f64 v[10:11], v[53:54], s[38:39], v[73:74]
	v_add_f64_e32 v[2:3], v[2:3], v[30:31]
	v_mul_f64_e32 v[30:31], s[54:55], v[151:152]
	v_add_f64_e32 v[22:23], v[22:23], v[199:200]
	s_delay_alu instid0(VALU_DEP_4) | instskip(SKIP_1) | instid1(VALU_DEP_1)
	v_add_f64_e32 v[0:1], v[10:11], v[0:1]
	v_fma_f64 v[10:11], v[55:56], s[48:49], v[75:76]
	v_add_f64_e32 v[2:3], v[10:11], v[2:3]
	v_fma_f64 v[10:11], v[49:50], s[36:37], v[77:78]
	s_delay_alu instid0(VALU_DEP_1) | instskip(SKIP_1) | instid1(VALU_DEP_1)
	v_add_f64_e32 v[0:1], v[10:11], v[0:1]
	v_fma_f64 v[10:11], v[51:52], s[60:61], v[79:80]
	v_add_f64_e32 v[2:3], v[10:11], v[2:3]
	v_fma_f64 v[10:11], v[45:46], s[34:35], v[81:82]
	s_delay_alu instid0(VALU_DEP_1) | instskip(SKIP_1) | instid1(VALU_DEP_1)
	;; [unrolled: 5-line block ×5, first 2 shown]
	v_add_f64_e32 v[0:1], v[10:11], v[0:1]
	v_fma_f64 v[10:11], v[32:33], s[56:57], v[95:96]
	v_add_f64_e32 v[2:3], v[10:11], v[2:3]
	v_fma_f64 v[10:11], v[57:58], s[36:37], v[113:114]
	s_delay_alu instid0(VALU_DEP_1) | instskip(SKIP_1) | instid1(VALU_DEP_2)
	v_add_f64_e32 v[8:9], v[10:11], v[8:9]
	v_fma_f64 v[10:11], v[59:60], s[60:61], v[115:116]
	v_add_f64_e32 v[8:9], v[12:13], v[8:9]
	s_delay_alu instid0(VALU_DEP_2) | instskip(SKIP_2) | instid1(VALU_DEP_2)
	v_add_f64_e32 v[10:11], v[10:11], v[18:19]
	v_fma_f64 v[12:13], v[55:56], s[58:59], v[119:120]
	v_fma_f64 v[18:19], v[59:60], s[56:57], v[229:230]
	v_add_f64_e32 v[10:11], v[12:13], v[10:11]
	v_fma_f64 v[12:13], v[49:50], s[26:27], v[121:122]
	s_delay_alu instid0(VALU_DEP_3) | instskip(NEXT) | instid1(VALU_DEP_2)
	v_add_f64_e32 v[18:19], v[18:19], v[195:196]
	v_add_f64_e32 v[8:9], v[12:13], v[8:9]
	v_fma_f64 v[12:13], v[51:52], s[56:57], v[123:124]
	s_delay_alu instid0(VALU_DEP_1) | instskip(SKIP_1) | instid1(VALU_DEP_1)
	v_add_f64_e32 v[10:11], v[12:13], v[10:11]
	v_fma_f64 v[12:13], v[45:46], s[28:29], v[127:128]
	v_add_f64_e32 v[8:9], v[12:13], v[8:9]
	v_fma_f64 v[12:13], v[47:48], s[10:11], v[129:130]
	s_delay_alu instid0(VALU_DEP_1) | instskip(SKIP_1) | instid1(VALU_DEP_1)
	v_add_f64_e32 v[10:11], v[12:13], v[10:11]
	v_fma_f64 v[12:13], v[38:39], s[34:35], v[131:132]
	;; [unrolled: 5-line block ×5, first 2 shown]
	v_add_f64_e32 v[12:13], v[12:13], v[163:164]
	v_mul_f64_e32 v[163:164], s[30:31], v[153:154]
	s_delay_alu instid0(VALU_DEP_1) | instskip(NEXT) | instid1(VALU_DEP_1)
	v_fma_f64 v[14:15], v[59:60], s[58:59], v[163:164]
	v_add_f64_e32 v[14:15], v[14:15], v[165:166]
	v_mul_f64_e32 v[165:166], s[56:57], v[151:152]
	s_delay_alu instid0(VALU_DEP_1) | instskip(NEXT) | instid1(VALU_DEP_1)
	v_fma_f64 v[16:17], v[53:54], s[26:27], v[165:166]
	v_add_f64_e32 v[12:13], v[16:17], v[12:13]
	v_fma_f64 v[16:17], v[55:56], s[8:9], v[167:168]
	s_delay_alu instid0(VALU_DEP_1) | instskip(SKIP_1) | instid1(VALU_DEP_1)
	v_add_f64_e32 v[14:15], v[16:17], v[14:15]
	v_fma_f64 v[16:17], v[49:50], s[34:35], v[169:170]
	v_add_f64_e32 v[12:13], v[16:17], v[12:13]
	v_fma_f64 v[16:17], v[51:52], s[16:17], v[171:172]
	s_delay_alu instid0(VALU_DEP_1) | instskip(SKIP_1) | instid1(VALU_DEP_1)
	v_add_f64_e32 v[14:15], v[16:17], v[14:15]
	;; [unrolled: 5-line block ×6, first 2 shown]
	v_fma_f64 v[16:17], v[57:58], s[26:27], v[227:228]
	v_add_f64_e32 v[16:17], v[16:17], v[193:194]
	v_fma_f64 v[193:194], v[53:54], s[40:41], v[30:31]
	s_delay_alu instid0(VALU_DEP_2) | instskip(SKIP_1) | instid1(VALU_DEP_1)
	v_add_f64_e32 v[16:17], v[20:21], v[16:17]
	v_fma_f64 v[20:21], v[55:56], s[16:17], v[233:234]
	v_add_f64_e32 v[18:19], v[20:21], v[18:19]
	v_fma_f64 v[20:21], v[49:50], s[42:43], v[235:236]
	s_delay_alu instid0(VALU_DEP_1) | instskip(SKIP_1) | instid1(VALU_DEP_1)
	v_add_f64_e32 v[16:17], v[20:21], v[16:17]
	v_fma_f64 v[20:21], v[51:52], s[44:45], v[237:238]
	v_add_f64_e32 v[18:19], v[20:21], v[18:19]
	v_fma_f64 v[20:21], v[45:46], s[38:39], v[239:240]
	s_delay_alu instid0(VALU_DEP_1) | instskip(SKIP_1) | instid1(VALU_DEP_1)
	;; [unrolled: 5-line block ×5, first 2 shown]
	v_add_f64_e32 v[16:17], v[20:21], v[16:17]
	v_fma_f64 v[20:21], v[32:33], s[24:25], v[253:254]
	v_add_f64_e32 v[18:19], v[20:21], v[18:19]
	v_fma_f64 v[20:21], v[57:58], s[28:29], v[26:27]
	v_fma_f64 v[26:27], v[57:58], s[28:29], -v[26:27]
	s_delay_alu instid0(VALU_DEP_2) | instskip(NEXT) | instid1(VALU_DEP_2)
	v_add_f64_e32 v[20:21], v[20:21], v[197:198]
	v_add_f64_e32 v[24:25], v[26:27], v[24:25]
	v_fma_f64 v[26:27], v[59:60], s[52:53], v[28:29]
	v_fma_f64 v[28:29], v[53:54], s[40:41], -v[30:31]
	s_delay_alu instid0(VALU_DEP_4) | instskip(SKIP_1) | instid1(VALU_DEP_4)
	v_add_f64_e32 v[20:21], v[193:194], v[20:21]
	v_mul_f64_e32 v[193:194], s[40:41], v[149:150]
	v_add_f64_e32 v[26:27], v[26:27], v[201:202]
	s_delay_alu instid0(VALU_DEP_4) | instskip(NEXT) | instid1(VALU_DEP_3)
	v_add_f64_e32 v[24:25], v[28:29], v[24:25]
	v_fma_f64 v[195:196], v[55:56], s[24:25], v[193:194]
	v_fma_f64 v[28:29], v[55:56], s[54:55], v[193:194]
	s_delay_alu instid0(VALU_DEP_2) | instskip(SKIP_1) | instid1(VALU_DEP_3)
	v_add_f64_e32 v[22:23], v[195:196], v[22:23]
	v_mul_f64_e32 v[195:196], s[22:23], v[143:144]
	v_add_f64_e32 v[26:27], v[28:29], v[26:27]
	s_delay_alu instid0(VALU_DEP_2) | instskip(SKIP_1) | instid1(VALU_DEP_2)
	v_fma_f64 v[197:198], v[49:50], s[38:39], v[195:196]
	v_fma_f64 v[28:29], v[49:50], s[38:39], -v[195:196]
	v_add_f64_e32 v[20:21], v[197:198], v[20:21]
	v_mul_f64_e32 v[197:198], s[38:39], v[141:142]
	s_delay_alu instid0(VALU_DEP_3) | instskip(NEXT) | instid1(VALU_DEP_2)
	v_add_f64_e32 v[24:25], v[28:29], v[24:25]
	v_fma_f64 v[199:200], v[51:52], s[48:49], v[197:198]
	v_fma_f64 v[28:29], v[51:52], s[22:23], v[197:198]
	s_delay_alu instid0(VALU_DEP_2) | instskip(SKIP_1) | instid1(VALU_DEP_3)
	v_add_f64_e32 v[22:23], v[199:200], v[22:23]
	v_mul_f64_e32 v[199:200], s[8:9], v[135:136]
	v_add_f64_e32 v[26:27], v[28:29], v[26:27]
	s_delay_alu instid0(VALU_DEP_2) | instskip(SKIP_1) | instid1(VALU_DEP_2)
	v_fma_f64 v[61:62], v[45:46], s[26:27], v[199:200]
	v_fma_f64 v[28:29], v[45:46], s[26:27], -v[199:200]
	v_add_f64_e32 v[20:21], v[61:62], v[20:21]
	v_mul_f64_e32 v[61:62], s[26:27], v[125:126]
	s_delay_alu instid0(VALU_DEP_3) | instskip(NEXT) | instid1(VALU_DEP_2)
	v_add_f64_e32 v[24:25], v[28:29], v[24:25]
	v_fma_f64 v[63:64], v[47:48], s[56:57], v[61:62]
	v_fma_f64 v[28:29], v[47:48], s[8:9], v[61:62]
	v_mul_f64_e32 v[61:62], s[50:51], v[155:156]
	s_delay_alu instid0(VALU_DEP_3) | instskip(SKIP_1) | instid1(VALU_DEP_4)
	v_add_f64_e32 v[22:23], v[63:64], v[22:23]
	v_mul_f64_e32 v[63:64], s[60:61], v[111:112]
	v_add_f64_e32 v[26:27], v[28:29], v[26:27]
	s_delay_alu instid0(VALU_DEP_2) | instskip(SKIP_2) | instid1(VALU_DEP_3)
	v_fma_f64 v[65:66], v[38:39], s[36:37], v[63:64]
	v_fma_f64 v[28:29], v[38:39], s[36:37], -v[63:64]
	v_mul_f64_e32 v[63:64], s[34:35], v[153:154]
	v_add_f64_e32 v[20:21], v[65:66], v[20:21]
	v_mul_f64_e32 v[65:66], s[36:37], v[109:110]
	s_delay_alu instid0(VALU_DEP_4) | instskip(NEXT) | instid1(VALU_DEP_2)
	v_add_f64_e32 v[24:25], v[28:29], v[24:25]
	v_fma_f64 v[69:70], v[43:44], s[18:19], v[65:66]
	v_fma_f64 v[28:29], v[43:44], s[60:61], v[65:66]
	v_mul_f64_e32 v[65:66], s[44:45], v[151:152]
	s_delay_alu instid0(VALU_DEP_3) | instskip(SKIP_1) | instid1(VALU_DEP_4)
	v_add_f64_e32 v[22:23], v[69:70], v[22:23]
	v_mul_f64_e32 v[69:70], s[44:45], v[107:108]
	v_add_f64_e32 v[26:27], v[28:29], v[26:27]
	s_delay_alu instid0(VALU_DEP_2) | instskip(SKIP_3) | instid1(VALU_DEP_4)
	v_fma_f64 v[101:102], v[34:35], s[42:43], v[69:70]
	v_fma_f64 v[28:29], v[34:35], s[42:43], -v[69:70]
	v_fma_f64 v[69:70], v[53:54], s[42:43], v[65:66]
	v_fma_f64 v[65:66], v[53:54], s[42:43], -v[65:66]
	v_add_f64_e32 v[20:21], v[101:102], v[20:21]
	v_mul_f64_e32 v[101:102], s[42:43], v[105:106]
	v_add_f64_e32 v[24:25], v[28:29], v[24:25]
	s_delay_alu instid0(VALU_DEP_2) | instskip(SKIP_1) | instid1(VALU_DEP_2)
	v_fma_f64 v[103:104], v[36:37], s[46:47], v[101:102]
	v_fma_f64 v[28:29], v[36:37], s[44:45], v[101:102]
	v_add_f64_e32 v[22:23], v[103:104], v[22:23]
	v_mul_f64_e32 v[103:104], s[14:15], v[99:100]
	s_delay_alu instid0(VALU_DEP_3) | instskip(NEXT) | instid1(VALU_DEP_2)
	v_add_f64_e32 v[26:27], v[28:29], v[26:27]
	v_fma_f64 v[191:192], v[41:42], s[30:31], v[103:104]
	v_fma_f64 v[28:29], v[41:42], s[30:31], -v[103:104]
	s_delay_alu instid0(VALU_DEP_2) | instskip(SKIP_1) | instid1(VALU_DEP_3)
	v_add_f64_e32 v[20:21], v[191:192], v[20:21]
	v_mul_f64_e32 v[191:192], s[30:31], v[97:98]
	v_add_f64_e32 v[24:25], v[28:29], v[24:25]
	v_fma_f64 v[28:29], v[57:58], s[34:35], v[61:62]
	v_fma_f64 v[61:62], v[57:58], s[34:35], -v[61:62]
	s_delay_alu instid0(VALU_DEP_4) | instskip(SKIP_1) | instid1(VALU_DEP_4)
	v_fma_f64 v[30:31], v[32:33], s[14:15], v[191:192]
	v_fma_f64 v[157:158], v[32:33], s[58:59], v[191:192]
	v_add_f64_e32 v[28:29], v[28:29], v[203:204]
	s_delay_alu instid0(VALU_DEP_4)
	v_add_f64_e32 v[61:62], v[61:62], v[207:208]
	v_mul_f64_e32 v[207:208], s[26:27], v[109:110]
	v_add_f64_e32 v[26:27], v[30:31], v[26:27]
	v_fma_f64 v[30:31], v[59:60], s[16:17], v[63:64]
	v_add_f64_e32 v[28:29], v[69:70], v[28:29]
	v_mul_f64_e32 v[69:70], s[42:43], v[149:150]
	v_add_f64_e32 v[22:23], v[157:158], v[22:23]
	v_fma_f64 v[63:64], v[59:60], s[50:51], v[63:64]
	v_add_f64_e32 v[61:62], v[65:66], v[61:62]
	v_add_f64_e32 v[30:31], v[30:31], v[205:206]
	v_fma_f64 v[101:102], v[55:56], s[46:47], v[69:70]
	v_fma_f64 v[65:66], v[55:56], s[44:45], v[69:70]
	v_add_f64_e32 v[63:64], v[63:64], v[209:210]
	v_mul_f64_e32 v[209:210], s[54:55], v[107:108]
	s_delay_alu instid0(VALU_DEP_4) | instskip(SKIP_1) | instid1(VALU_DEP_4)
	v_add_f64_e32 v[30:31], v[101:102], v[30:31]
	v_mul_f64_e32 v[101:102], s[10:11], v[143:144]
	v_add_f64_e32 v[63:64], v[65:66], v[63:64]
	s_delay_alu instid0(VALU_DEP_2) | instskip(SKIP_2) | instid1(VALU_DEP_3)
	v_fma_f64 v[103:104], v[49:50], s[28:29], v[101:102]
	v_fma_f64 v[65:66], v[49:50], s[28:29], -v[101:102]
	v_mul_f64_e32 v[101:102], s[18:19], v[151:152]
	v_add_f64_e32 v[28:29], v[103:104], v[28:29]
	v_mul_f64_e32 v[103:104], s[28:29], v[141:142]
	s_delay_alu instid0(VALU_DEP_4) | instskip(NEXT) | instid1(VALU_DEP_2)
	v_add_f64_e32 v[61:62], v[65:66], v[61:62]
	v_fma_f64 v[157:158], v[51:52], s[52:53], v[103:104]
	v_fma_f64 v[65:66], v[51:52], s[10:11], v[103:104]
	;; [unrolled: 1-line block ×3, first 2 shown]
	s_delay_alu instid0(VALU_DEP_3) | instskip(SKIP_1) | instid1(VALU_DEP_4)
	v_add_f64_e32 v[30:31], v[157:158], v[30:31]
	v_mul_f64_e32 v[157:158], s[60:61], v[135:136]
	v_add_f64_e32 v[63:64], v[65:66], v[63:64]
	s_delay_alu instid0(VALU_DEP_2) | instskip(SKIP_1) | instid1(VALU_DEP_2)
	v_fma_f64 v[191:192], v[45:46], s[36:37], v[157:158]
	v_fma_f64 v[65:66], v[45:46], s[36:37], -v[157:158]
	v_add_f64_e32 v[28:29], v[191:192], v[28:29]
	v_mul_f64_e32 v[191:192], s[36:37], v[125:126]
	s_delay_alu instid0(VALU_DEP_3) | instskip(NEXT) | instid1(VALU_DEP_2)
	v_add_f64_e32 v[61:62], v[65:66], v[61:62]
	v_fma_f64 v[193:194], v[47:48], s[18:19], v[191:192]
	v_fma_f64 v[65:66], v[47:48], s[60:61], v[191:192]
	s_delay_alu instid0(VALU_DEP_2) | instskip(SKIP_1) | instid1(VALU_DEP_3)
	v_add_f64_e32 v[30:31], v[193:194], v[30:31]
	v_mul_f64_e32 v[193:194], s[24:25], v[111:112]
	v_add_f64_e32 v[63:64], v[65:66], v[63:64]
	s_delay_alu instid0(VALU_DEP_2) | instskip(SKIP_1) | instid1(VALU_DEP_2)
	v_fma_f64 v[195:196], v[38:39], s[40:41], v[193:194]
	v_fma_f64 v[65:66], v[38:39], s[40:41], -v[193:194]
	v_add_f64_e32 v[28:29], v[195:196], v[28:29]
	v_mul_f64_e32 v[195:196], s[40:41], v[109:110]
	s_delay_alu instid0(VALU_DEP_3) | instskip(SKIP_1) | instid1(VALU_DEP_3)
	v_add_f64_e32 v[61:62], v[65:66], v[61:62]
	v_mul_f64_e32 v[109:110], s[38:39], v[109:110]
	v_fma_f64 v[197:198], v[43:44], s[54:55], v[195:196]
	v_fma_f64 v[65:66], v[43:44], s[24:25], v[195:196]
	s_delay_alu instid0(VALU_DEP_2) | instskip(SKIP_1) | instid1(VALU_DEP_3)
	v_add_f64_e32 v[30:31], v[197:198], v[30:31]
	v_mul_f64_e32 v[197:198], s[8:9], v[107:108]
	v_add_f64_e32 v[63:64], v[65:66], v[63:64]
	v_mul_f64_e32 v[107:108], s[16:17], v[107:108]
	s_delay_alu instid0(VALU_DEP_3) | instskip(SKIP_1) | instid1(VALU_DEP_2)
	v_fma_f64 v[199:200], v[34:35], s[26:27], v[197:198]
	v_fma_f64 v[65:66], v[34:35], s[26:27], -v[197:198]
	v_add_f64_e32 v[28:29], v[199:200], v[28:29]
	v_mul_f64_e32 v[199:200], s[26:27], v[105:106]
	s_delay_alu instid0(VALU_DEP_3) | instskip(NEXT) | instid1(VALU_DEP_2)
	v_add_f64_e32 v[61:62], v[65:66], v[61:62]
	v_fma_f64 v[201:202], v[36:37], s[56:57], v[199:200]
	v_fma_f64 v[65:66], v[36:37], s[8:9], v[199:200]
	s_delay_alu instid0(VALU_DEP_2) | instskip(SKIP_1) | instid1(VALU_DEP_3)
	v_add_f64_e32 v[30:31], v[201:202], v[30:31]
	v_mul_f64_e32 v[201:202], s[48:49], v[99:100]
	v_add_f64_e32 v[63:64], v[65:66], v[63:64]
	s_delay_alu instid0(VALU_DEP_2) | instskip(SKIP_3) | instid1(VALU_DEP_4)
	v_fma_f64 v[203:204], v[41:42], s[38:39], v[201:202]
	v_fma_f64 v[65:66], v[41:42], s[38:39], -v[201:202]
	v_mul_f64_e32 v[201:202], s[44:45], v[135:136]
	v_mul_f64_e32 v[135:136], s[14:15], v[135:136]
	v_add_f64_e32 v[28:29], v[203:204], v[28:29]
	v_mul_f64_e32 v[203:204], s[38:39], v[97:98]
	v_add_f64_e32 v[193:194], v[65:66], v[61:62]
	v_mul_f64_e32 v[61:62], s[48:49], v[155:156]
	v_mul_f64_e32 v[65:66], s[38:39], v[153:154]
	s_delay_alu instid0(VALU_DEP_4) | instskip(SKIP_3) | instid1(VALU_DEP_4)
	v_fma_f64 v[69:70], v[32:33], s[48:49], v[203:204]
	v_fma_f64 v[205:206], v[32:33], s[22:23], v[203:204]
	v_mul_f64_e32 v[203:204], s[42:43], v[125:126]
	v_mul_f64_e32 v[125:126], s[30:31], v[125:126]
	v_add_f64_e32 v[195:196], v[69:70], v[63:64]
	v_fma_f64 v[63:64], v[57:58], s[38:39], v[61:62]
	v_fma_f64 v[69:70], v[59:60], s[22:23], v[65:66]
	v_add_f64_e32 v[30:31], v[205:206], v[30:31]
	v_mul_f64_e32 v[205:206], s[8:9], v[111:112]
	v_fma_f64 v[61:62], v[57:58], s[38:39], -v[61:62]
	v_fma_f64 v[65:66], v[59:60], s[48:49], v[65:66]
	v_mul_f64_e32 v[111:112], s[48:49], v[111:112]
	v_add_f64_e32 v[63:64], v[63:64], v[211:212]
	v_add_f64_e32 v[69:70], v[69:70], v[213:214]
	v_mul_f64_e32 v[211:212], s[40:41], v[105:106]
	v_mul_f64_e32 v[213:214], s[16:17], v[99:100]
	v_add_f64_e32 v[61:62], v[61:62], v[215:216]
	v_add_f64_e32 v[65:66], v[65:66], v[217:218]
	v_mul_f64_e32 v[105:106], s[34:35], v[105:106]
	v_add_f64_e32 v[63:64], v[103:104], v[63:64]
	v_mul_f64_e32 v[103:104], s[36:37], v[149:150]
	s_delay_alu instid0(VALU_DEP_1) | instskip(NEXT) | instid1(VALU_DEP_1)
	v_fma_f64 v[157:158], v[55:56], s[60:61], v[103:104]
	v_add_f64_e32 v[69:70], v[157:158], v[69:70]
	v_mul_f64_e32 v[157:158], s[58:59], v[143:144]
	v_mul_f64_e32 v[143:144], s[54:55], v[143:144]
	s_delay_alu instid0(VALU_DEP_2) | instskip(NEXT) | instid1(VALU_DEP_1)
	v_fma_f64 v[191:192], v[49:50], s[30:31], v[157:158]
	v_add_f64_e32 v[63:64], v[191:192], v[63:64]
	v_mul_f64_e32 v[191:192], s[30:31], v[141:142]
	v_mul_f64_e32 v[141:142], s[40:41], v[141:142]
	s_delay_alu instid0(VALU_DEP_2) | instskip(NEXT) | instid1(VALU_DEP_1)
	v_fma_f64 v[197:198], v[51:52], s[14:15], v[191:192]
	v_add_f64_e32 v[69:70], v[197:198], v[69:70]
	v_fma_f64 v[197:198], v[45:46], s[42:43], v[201:202]
	s_delay_alu instid0(VALU_DEP_1) | instskip(SKIP_1) | instid1(VALU_DEP_1)
	v_add_f64_e32 v[63:64], v[197:198], v[63:64]
	v_fma_f64 v[197:198], v[47:48], s[46:47], v[203:204]
	v_add_f64_e32 v[69:70], v[197:198], v[69:70]
	v_fma_f64 v[197:198], v[38:39], s[26:27], v[205:206]
	s_delay_alu instid0(VALU_DEP_1) | instskip(SKIP_1) | instid1(VALU_DEP_1)
	v_add_f64_e32 v[63:64], v[197:198], v[63:64]
	;; [unrolled: 5-line block ×4, first 2 shown]
	v_mul_f64_e32 v[63:64], s[34:35], v[97:98]
	v_fma_f64 v[199:200], v[32:33], s[50:51], v[63:64]
	v_fma_f64 v[63:64], v[32:33], s[16:17], v[63:64]
	s_delay_alu instid0(VALU_DEP_2) | instskip(SKIP_3) | instid1(VALU_DEP_3)
	v_add_f64_e32 v[199:200], v[199:200], v[69:70]
	v_fma_f64 v[69:70], v[53:54], s[36:37], -v[101:102]
	v_mul_f64_e32 v[101:102], s[10:11], v[151:152]
	v_mul_f64_e32 v[151:152], s[36:37], v[97:98]
	v_add_f64_e32 v[61:62], v[69:70], v[61:62]
	v_fma_f64 v[69:70], v[55:56], s[18:19], v[103:104]
	s_delay_alu instid0(VALU_DEP_4) | instskip(NEXT) | instid1(VALU_DEP_2)
	v_fma_f64 v[103:104], v[53:54], s[28:29], v[101:102]
	v_add_f64_e32 v[65:66], v[69:70], v[65:66]
	v_fma_f64 v[69:70], v[49:50], s[30:31], -v[157:158]
	s_delay_alu instid0(VALU_DEP_1) | instskip(SKIP_1) | instid1(VALU_DEP_1)
	v_add_f64_e32 v[61:62], v[69:70], v[61:62]
	v_fma_f64 v[69:70], v[51:52], s[58:59], v[191:192]
	v_add_f64_e32 v[65:66], v[69:70], v[65:66]
	v_fma_f64 v[69:70], v[45:46], s[42:43], -v[201:202]
	s_delay_alu instid0(VALU_DEP_1) | instskip(SKIP_1) | instid1(VALU_DEP_1)
	v_add_f64_e32 v[61:62], v[69:70], v[61:62]
	;; [unrolled: 5-line block ×4, first 2 shown]
	v_fma_f64 v[69:70], v[36:37], s[54:55], v[211:212]
	v_add_f64_e32 v[65:66], v[69:70], v[65:66]
	v_fma_f64 v[69:70], v[41:42], s[34:35], -v[213:214]
	s_delay_alu instid0(VALU_DEP_2) | instskip(NEXT) | instid1(VALU_DEP_2)
	v_add_f64_e32 v[203:204], v[63:64], v[65:66]
	v_add_f64_e32 v[201:202], v[69:70], v[61:62]
	v_mul_f64_e32 v[61:62], s[46:47], v[155:156]
	v_mul_f64_e32 v[65:66], s[42:43], v[153:154]
	s_delay_alu instid0(VALU_DEP_2) | instskip(NEXT) | instid1(VALU_DEP_2)
	v_fma_f64 v[63:64], v[57:58], s[42:43], v[61:62]
	v_fma_f64 v[69:70], v[59:60], s[44:45], v[65:66]
	v_fma_f64 v[61:62], v[57:58], s[42:43], -v[61:62]
	s_delay_alu instid0(VALU_DEP_3) | instskip(NEXT) | instid1(VALU_DEP_3)
	v_add_f64_e32 v[63:64], v[63:64], v[219:220]
	v_add_f64_e32 v[69:70], v[69:70], v[221:222]
	s_delay_alu instid0(VALU_DEP_3) | instskip(NEXT) | instid1(VALU_DEP_3)
	v_add_f64_e32 v[61:62], v[61:62], v[223:224]
	v_add_f64_e32 v[63:64], v[103:104], v[63:64]
	v_mul_f64_e32 v[103:104], s[28:29], v[149:150]
	s_delay_alu instid0(VALU_DEP_1) | instskip(NEXT) | instid1(VALU_DEP_1)
	v_fma_f64 v[149:150], v[55:56], s[52:53], v[103:104]
	v_add_f64_e32 v[69:70], v[149:150], v[69:70]
	v_fma_f64 v[149:150], v[49:50], s[40:41], v[143:144]
	s_delay_alu instid0(VALU_DEP_1) | instskip(SKIP_1) | instid1(VALU_DEP_1)
	v_add_f64_e32 v[63:64], v[149:150], v[63:64]
	v_fma_f64 v[149:150], v[51:52], s[24:25], v[141:142]
	v_add_f64_e32 v[69:70], v[149:150], v[69:70]
	v_fma_f64 v[149:150], v[45:46], s[30:31], v[135:136]
	s_delay_alu instid0(VALU_DEP_1) | instskip(SKIP_1) | instid1(VALU_DEP_1)
	v_add_f64_e32 v[63:64], v[149:150], v[63:64]
	;; [unrolled: 5-line block ×4, first 2 shown]
	v_fma_f64 v[149:150], v[36:37], s[50:51], v[105:106]
	v_add_f64_e32 v[69:70], v[149:150], v[69:70]
	v_mul_f64_e32 v[149:150], s[60:61], v[99:100]
	s_delay_alu instid0(VALU_DEP_1) | instskip(NEXT) | instid1(VALU_DEP_1)
	v_fma_f64 v[97:98], v[41:42], s[36:37], v[149:150]
	v_add_f64_e32 v[97:98], v[97:98], v[63:64]
	v_fma_f64 v[63:64], v[32:33], s[18:19], v[151:152]
	s_delay_alu instid0(VALU_DEP_1) | instskip(SKIP_3) | instid1(VALU_DEP_3)
	v_add_f64_e32 v[99:100], v[63:64], v[69:70]
	v_fma_f64 v[63:64], v[59:60], s[46:47], v[65:66]
	v_fma_f64 v[65:66], v[53:54], s[28:29], -v[101:102]
	v_fma_f64 v[69:70], v[32:33], s[60:61], v[151:152]
	v_add_f64_e32 v[63:64], v[63:64], v[225:226]
	s_delay_alu instid0(VALU_DEP_3) | instskip(SKIP_1) | instid1(VALU_DEP_1)
	v_add_f64_e32 v[61:62], v[65:66], v[61:62]
	v_fma_f64 v[65:66], v[55:56], s[10:11], v[103:104]
	v_add_f64_e32 v[63:64], v[65:66], v[63:64]
	v_fma_f64 v[65:66], v[49:50], s[40:41], -v[143:144]
	s_delay_alu instid0(VALU_DEP_1) | instskip(SKIP_1) | instid1(VALU_DEP_1)
	v_add_f64_e32 v[61:62], v[65:66], v[61:62]
	v_fma_f64 v[65:66], v[51:52], s[54:55], v[141:142]
	v_add_f64_e32 v[63:64], v[65:66], v[63:64]
	v_fma_f64 v[65:66], v[45:46], s[30:31], -v[135:136]
	s_delay_alu instid0(VALU_DEP_1) | instskip(SKIP_1) | instid1(VALU_DEP_1)
	;; [unrolled: 5-line block ×4, first 2 shown]
	v_add_f64_e32 v[61:62], v[65:66], v[61:62]
	v_fma_f64 v[65:66], v[36:37], s[16:17], v[105:106]
	v_add_f64_e32 v[63:64], v[65:66], v[63:64]
	v_fma_f64 v[65:66], v[41:42], s[36:37], -v[149:150]
	s_delay_alu instid0(VALU_DEP_2) | instskip(NEXT) | instid1(VALU_DEP_2)
	v_add_f64_e32 v[107:108], v[69:70], v[63:64]
	v_add_f64_e32 v[105:106], v[65:66], v[61:62]
	scratch_load_b64 v[65:66], off, off offset:52 th:TH_LOAD_LU ; 8-byte Folded Reload
	v_fma_f64 v[61:62], v[57:58], s[26:27], -v[227:228]
	v_fma_f64 v[63:64], v[59:60], s[8:9], v[229:230]
	v_fma_f64 v[69:70], v[32:33], s[54:55], v[253:254]
	s_delay_alu instid0(VALU_DEP_3) | instskip(SKIP_1) | instid1(VALU_DEP_3)
	v_add_f64_e32 v[61:62], v[61:62], v[159:160]
	s_wait_loadcnt 0x0
	v_add_f64_e32 v[63:64], v[63:64], v[65:66]
	v_fma_f64 v[65:66], v[53:54], s[34:35], -v[231:232]
	s_delay_alu instid0(VALU_DEP_1) | instskip(SKIP_1) | instid1(VALU_DEP_1)
	v_add_f64_e32 v[61:62], v[65:66], v[61:62]
	v_fma_f64 v[65:66], v[55:56], s[50:51], v[233:234]
	v_add_f64_e32 v[63:64], v[65:66], v[63:64]
	v_fma_f64 v[65:66], v[49:50], s[42:43], -v[235:236]
	s_delay_alu instid0(VALU_DEP_1) | instskip(SKIP_1) | instid1(VALU_DEP_1)
	v_add_f64_e32 v[61:62], v[65:66], v[61:62]
	v_fma_f64 v[65:66], v[51:52], s[46:47], v[237:238]
	;; [unrolled: 5-line block ×5, first 2 shown]
	v_add_f64_e32 v[63:64], v[65:66], v[63:64]
	v_fma_f64 v[65:66], v[41:42], s[40:41], -v[251:252]
	s_delay_alu instid0(VALU_DEP_2)
	v_add_f64_e32 v[111:112], v[69:70], v[63:64]
	scratch_load_b64 v[63:64], off, off offset:44 th:TH_LOAD_LU ; 8-byte Folded Reload
	v_add_f64_e32 v[109:110], v[65:66], v[61:62]
	scratch_load_b64 v[65:66], off, off offset:36 th:TH_LOAD_LU ; 8-byte Folded Reload
	v_fma_f64 v[61:62], v[57:58], s[30:31], -v[161:162]
	v_fma_f64 v[69:70], v[32:33], s[10:11], v[187:188]
	s_wait_loadcnt 0x1
	s_delay_alu instid0(VALU_DEP_2) | instskip(SKIP_2) | instid1(VALU_DEP_1)
	v_add_f64_e32 v[61:62], v[61:62], v[63:64]
	v_fma_f64 v[63:64], v[59:60], s[14:15], v[163:164]
	s_wait_loadcnt 0x0
	v_add_f64_e32 v[63:64], v[63:64], v[65:66]
	v_fma_f64 v[65:66], v[53:54], s[26:27], -v[165:166]
	s_delay_alu instid0(VALU_DEP_1) | instskip(SKIP_1) | instid1(VALU_DEP_1)
	v_add_f64_e32 v[61:62], v[65:66], v[61:62]
	v_fma_f64 v[65:66], v[55:56], s[56:57], v[167:168]
	v_add_f64_e32 v[63:64], v[65:66], v[63:64]
	v_fma_f64 v[65:66], v[49:50], s[34:35], -v[169:170]
	s_delay_alu instid0(VALU_DEP_1) | instskip(SKIP_1) | instid1(VALU_DEP_1)
	v_add_f64_e32 v[61:62], v[65:66], v[61:62]
	v_fma_f64 v[65:66], v[51:52], s[50:51], v[171:172]
	v_add_f64_e32 v[63:64], v[65:66], v[63:64]
	v_fma_f64 v[65:66], v[45:46], s[40:41], -v[173:174]
	s_delay_alu instid0(VALU_DEP_1) | instskip(SKIP_1) | instid1(VALU_DEP_1)
	v_add_f64_e32 v[61:62], v[65:66], v[61:62]
	v_fma_f64 v[65:66], v[47:48], s[54:55], v[175:176]
	v_add_f64_e32 v[63:64], v[65:66], v[63:64]
	v_fma_f64 v[65:66], v[38:39], s[42:43], -v[177:178]
	s_delay_alu instid0(VALU_DEP_1) | instskip(SKIP_1) | instid1(VALU_DEP_1)
	v_add_f64_e32 v[61:62], v[65:66], v[61:62]
	v_fma_f64 v[65:66], v[43:44], s[44:45], v[179:180]
	v_add_f64_e32 v[63:64], v[65:66], v[63:64]
	v_fma_f64 v[65:66], v[34:35], s[36:37], -v[181:182]
	s_delay_alu instid0(VALU_DEP_1) | instskip(SKIP_1) | instid1(VALU_DEP_1)
	v_add_f64_e32 v[61:62], v[65:66], v[61:62]
	v_fma_f64 v[65:66], v[36:37], s[18:19], v[183:184]
	v_add_f64_e32 v[63:64], v[65:66], v[63:64]
	v_fma_f64 v[65:66], v[41:42], s[28:29], -v[185:186]
	s_delay_alu instid0(VALU_DEP_2)
	v_add_f64_e32 v[103:104], v[69:70], v[63:64]
	scratch_load_b64 v[63:64], off, off offset:28 th:TH_LOAD_LU ; 8-byte Folded Reload
	v_add_f64_e32 v[101:102], v[65:66], v[61:62]
	scratch_load_b64 v[65:66], off, off offset:20 th:TH_LOAD_LU ; 8-byte Folded Reload
	v_fma_f64 v[61:62], v[57:58], s[36:37], -v[113:114]
	v_fma_f64 v[57:58], v[57:58], s[40:41], -v[67:68]
	v_fma_f64 v[69:70], v[32:33], s[46:47], v[147:148]
	s_wait_loadcnt 0x1
	s_delay_alu instid0(VALU_DEP_3) | instskip(SKIP_3) | instid1(VALU_DEP_2)
	v_add_f64_e32 v[61:62], v[61:62], v[63:64]
	v_fma_f64 v[63:64], v[59:60], s[18:19], v[115:116]
	v_fma_f64 v[59:60], v[59:60], s[24:25], v[71:72]
	s_wait_loadcnt 0x0
	v_add_f64_e32 v[63:64], v[63:64], v[65:66]
	v_fma_f64 v[65:66], v[53:54], s[30:31], -v[117:118]
	v_fma_f64 v[53:54], v[53:54], s[38:39], -v[73:74]
	s_delay_alu instid0(VALU_DEP_2) | instskip(SKIP_2) | instid1(VALU_DEP_2)
	v_add_f64_e32 v[61:62], v[65:66], v[61:62]
	v_fma_f64 v[65:66], v[55:56], s[14:15], v[119:120]
	v_fma_f64 v[55:56], v[55:56], s[22:23], v[75:76]
	v_add_f64_e32 v[63:64], v[65:66], v[63:64]
	v_fma_f64 v[65:66], v[49:50], s[26:27], -v[121:122]
	v_fma_f64 v[49:50], v[49:50], s[36:37], -v[77:78]
	s_delay_alu instid0(VALU_DEP_2) | instskip(SKIP_2) | instid1(VALU_DEP_2)
	v_add_f64_e32 v[61:62], v[65:66], v[61:62]
	v_fma_f64 v[65:66], v[51:52], s[8:9], v[123:124]
	v_fma_f64 v[51:52], v[51:52], s[18:19], v[79:80]
	;; [unrolled: 7-line block ×5, first 2 shown]
	v_add_f64_e32 v[63:64], v[65:66], v[63:64]
	v_fma_f64 v[65:66], v[41:42], s[42:43], -v[145:146]
	s_delay_alu instid0(VALU_DEP_2) | instskip(NEXT) | instid1(VALU_DEP_2)
	v_add_f64_e32 v[115:116], v[69:70], v[63:64]
	v_add_f64_e32 v[113:114], v[65:66], v[61:62]
	scratch_load_b64 v[61:62], off, off offset:4 th:TH_LOAD_LU ; 8-byte Folded Reload
	s_wait_loadcnt 0x0
	v_add_f64_e32 v[57:58], v[57:58], v[61:62]
	scratch_load_b64 v[61:62], off, off offset:12 th:TH_LOAD_LU ; 8-byte Folded Reload
	global_wb scope:SCOPE_SE
	s_wait_loadcnt 0x0
	s_wait_storecnt 0x0
	s_barrier_signal -1
	s_barrier_wait -1
	global_inv scope:SCOPE_SE
	ds_store_b128 v190, v[4:7]
	ds_store_b128 v190, v[0:3] offset:16
	ds_store_b128 v190, v[8:11] offset:32
	ds_store_b128 v190, v[12:15] offset:48
	ds_store_b128 v190, v[16:19] offset:64
	ds_store_b128 v190, v[20:23] offset:80
	ds_store_b128 v190, v[28:31] offset:96
	ds_store_b128 v190, v[197:200] offset:112
	v_and_b32_e32 v2, 0xffff, v189
	ds_store_b128 v190, v[97:100] offset:128
	ds_store_b128 v190, v[105:108] offset:144
	;; [unrolled: 1-line block ×8, first 2 shown]
	v_lshlrev_b32_e32 v4, 4, v255
	v_mad_co_u64_u32 v[0:1], null, s4, v2, 0
	s_delay_alu instid0(VALU_DEP_1) | instskip(NEXT) | instid1(VALU_DEP_1)
	v_mad_co_u64_u32 v[1:2], null, s5, v2, v[1:2]
	v_lshlrev_b64_e32 v[0:1], 4, v[0:1]
	s_wait_alu 0xfffe
	s_delay_alu instid0(VALU_DEP_1) | instskip(SKIP_1) | instid1(VALU_DEP_2)
	v_add_co_u32 v30, vcc_lo, s0, v0
	s_wait_alu 0xfffd
	v_add_co_ci_u32_e32 v31, vcc_lo, s1, v1, vcc_lo
	v_add_f64_e32 v[53:54], v[53:54], v[57:58]
	v_add_nc_u32_e32 v0, v190, v4
	s_delay_alu instid0(VALU_DEP_2) | instskip(NEXT) | instid1(VALU_DEP_1)
	v_add_f64_e32 v[49:50], v[49:50], v[53:54]
	v_add_f64_e32 v[45:46], v[45:46], v[49:50]
	s_delay_alu instid0(VALU_DEP_1) | instskip(NEXT) | instid1(VALU_DEP_1)
	v_add_f64_e32 v[38:39], v[38:39], v[45:46]
	v_add_f64_e32 v[34:35], v[34:35], v[38:39]
	v_fma_f64 v[38:39], v[41:42], s[26:27], -v[93:94]
	v_fma_f64 v[41:42], v[32:33], s[8:9], v[95:96]
	s_delay_alu instid0(VALU_DEP_2) | instskip(SKIP_1) | instid1(VALU_DEP_1)
	v_add_f64_e32 v[32:33], v[38:39], v[34:35]
	v_mul_lo_u32 v39, s7, v255
	v_lshlrev_b64_e32 v[2:3], 4, v[39:40]
	v_add_nc_u32_e32 v39, s7, v39
	s_delay_alu instid0(VALU_DEP_2) | instskip(NEXT) | instid1(VALU_DEP_2)
	v_add_co_u32 v18, vcc_lo, v30, v2
	v_lshlrev_b64_e32 v[16:17], 4, v[39:40]
	v_add_nc_u32_e32 v39, s7, v39
	s_wait_alu 0xfffd
	v_add_co_ci_u32_e32 v19, vcc_lo, v31, v3, vcc_lo
	s_delay_alu instid0(VALU_DEP_2) | instskip(SKIP_4) | instid1(VALU_DEP_3)
	v_lshlrev_b64_e32 v[20:21], 4, v[39:40]
	v_add_nc_u32_e32 v39, s7, v39
	v_add_co_u32 v16, vcc_lo, v30, v16
	s_wait_alu 0xfffd
	v_add_co_ci_u32_e32 v17, vcc_lo, v31, v17, vcc_lo
	v_lshlrev_b64_e32 v[22:23], 4, v[39:40]
	v_add_nc_u32_e32 v39, s7, v39
	v_add_co_u32 v20, vcc_lo, v30, v20
	s_wait_alu 0xfffd
	v_add_co_ci_u32_e32 v21, vcc_lo, v31, v21, vcc_lo
	s_delay_alu instid0(VALU_DEP_4)
	v_add_co_u32 v22, vcc_lo, v30, v22
	v_lshlrev_b64_e32 v[24:25], 4, v[39:40]
	v_add_nc_u32_e32 v39, s7, v39
	s_wait_alu 0xfffd
	v_add_co_ci_u32_e32 v23, vcc_lo, v31, v23, vcc_lo
	v_add_f64_e32 v[59:60], v[59:60], v[61:62]
	s_delay_alu instid0(VALU_DEP_1) | instskip(NEXT) | instid1(VALU_DEP_1)
	v_add_f64_e32 v[55:56], v[55:56], v[59:60]
	v_add_f64_e32 v[51:52], v[51:52], v[55:56]
	s_delay_alu instid0(VALU_DEP_1) | instskip(NEXT) | instid1(VALU_DEP_1)
	v_add_f64_e32 v[47:48], v[47:48], v[51:52]
	v_add_f64_e32 v[43:44], v[43:44], v[47:48]
	s_delay_alu instid0(VALU_DEP_1) | instskip(NEXT) | instid1(VALU_DEP_1)
	v_add_f64_e32 v[36:37], v[36:37], v[43:44]
	v_add_f64_e32 v[34:35], v[41:42], v[36:37]
	ds_store_b128 v190, v[32:35] offset:256
	global_wb scope:SCOPE_SE
	s_wait_dscnt 0x0
	s_barrier_signal -1
	s_barrier_wait -1
	global_inv scope:SCOPE_SE
	scratch_load_b32 v1, off, off th:TH_LOAD_LU ; 4-byte Folded Reload
	s_wait_loadcnt 0x0
	v_add3_u32 v26, 0, v4, v1
	ds_load_b128 v[0:3], v0
	ds_load_b128 v[4:7], v26 offset:16
	ds_load_b128 v[8:11], v26 offset:32
	;; [unrolled: 1-line block ×3, first 2 shown]
	s_wait_dscnt 0x3
	global_store_b128 v[18:19], v[0:3], off
	s_wait_dscnt 0x2
	global_store_b128 v[16:17], v[4:7], off
	;; [unrolled: 2-line block ×4, first 2 shown]
	v_lshlrev_b64_e32 v[16:17], 4, v[39:40]
	v_add_nc_u32_e32 v39, s7, v39
	ds_load_b128 v[0:3], v26 offset:64
	ds_load_b128 v[4:7], v26 offset:80
	;; [unrolled: 1-line block ×4, first 2 shown]
	v_add_co_u32 v18, vcc_lo, v30, v24
	v_lshlrev_b64_e32 v[20:21], 4, v[39:40]
	v_add_nc_u32_e32 v39, s7, v39
	s_wait_alu 0xfffd
	v_add_co_ci_u32_e32 v19, vcc_lo, v31, v25, vcc_lo
	v_add_co_u32 v16, vcc_lo, v30, v16
	s_delay_alu instid0(VALU_DEP_3)
	v_lshlrev_b64_e32 v[22:23], 4, v[39:40]
	v_add_nc_u32_e32 v39, s7, v39
	s_wait_alu 0xfffd
	v_add_co_ci_u32_e32 v17, vcc_lo, v31, v17, vcc_lo
	v_add_co_u32 v20, vcc_lo, v30, v20
	s_wait_alu 0xfffd
	v_add_co_ci_u32_e32 v21, vcc_lo, v31, v21, vcc_lo
	v_add_co_u32 v22, vcc_lo, v30, v22
	v_lshlrev_b64_e32 v[24:25], 4, v[39:40]
	v_add_nc_u32_e32 v39, s7, v39
	s_wait_alu 0xfffd
	v_add_co_ci_u32_e32 v23, vcc_lo, v31, v23, vcc_lo
	s_wait_dscnt 0x3
	global_store_b128 v[18:19], v[0:3], off
	s_wait_dscnt 0x2
	global_store_b128 v[16:17], v[4:7], off
	s_wait_dscnt 0x1
	global_store_b128 v[20:21], v[8:11], off
	s_wait_dscnt 0x0
	global_store_b128 v[22:23], v[12:15], off
	ds_load_b128 v[0:3], v26 offset:128
	ds_load_b128 v[4:7], v26 offset:144
	v_lshlrev_b64_e32 v[16:17], 4, v[39:40]
	v_add_nc_u32_e32 v39, s7, v39
	ds_load_b128 v[8:11], v26 offset:160
	ds_load_b128 v[12:15], v26 offset:176
	v_add_co_u32 v18, vcc_lo, v30, v24
	s_wait_alu 0xfffd
	v_add_co_ci_u32_e32 v19, vcc_lo, v31, v25, vcc_lo
	v_lshlrev_b64_e32 v[20:21], 4, v[39:40]
	v_add_nc_u32_e32 v39, s7, v39
	v_add_co_u32 v16, vcc_lo, v30, v16
	s_wait_alu 0xfffd
	v_add_co_ci_u32_e32 v17, vcc_lo, v31, v17, vcc_lo
	s_delay_alu instid0(VALU_DEP_3) | instskip(SKIP_4) | instid1(VALU_DEP_3)
	v_lshlrev_b64_e32 v[22:23], 4, v[39:40]
	v_add_nc_u32_e32 v39, s7, v39
	v_add_co_u32 v20, vcc_lo, v30, v20
	s_wait_alu 0xfffd
	v_add_co_ci_u32_e32 v21, vcc_lo, v31, v21, vcc_lo
	v_lshlrev_b64_e32 v[24:25], 4, v[39:40]
	v_add_nc_u32_e32 v39, s7, v39
	v_add_co_u32 v22, vcc_lo, v30, v22
	s_wait_alu 0xfffd
	v_add_co_ci_u32_e32 v23, vcc_lo, v31, v23, vcc_lo
	s_wait_dscnt 0x3
	global_store_b128 v[18:19], v[0:3], off
	s_wait_dscnt 0x2
	global_store_b128 v[16:17], v[4:7], off
	;; [unrolled: 2-line block ×4, first 2 shown]
	v_lshlrev_b64_e32 v[8:9], 4, v[39:40]
	v_add_co_u32 v20, vcc_lo, v30, v24
	v_add_nc_u32_e32 v39, s7, v39
	s_wait_alu 0xfffd
	v_add_co_ci_u32_e32 v21, vcc_lo, v31, v25, vcc_lo
	s_delay_alu instid0(VALU_DEP_4)
	v_add_co_u32 v24, vcc_lo, v30, v8
	ds_load_b128 v[0:3], v26 offset:192
	ds_load_b128 v[4:7], v26 offset:208
	s_wait_alu 0xfffd
	v_add_co_ci_u32_e32 v25, vcc_lo, v31, v9, vcc_lo
	ds_load_b128 v[8:11], v26 offset:224
	ds_load_b128 v[12:15], v26 offset:240
	;; [unrolled: 1-line block ×3, first 2 shown]
	v_lshlrev_b64_e32 v[22:23], 4, v[39:40]
	v_add_nc_u32_e32 v39, s7, v39
	s_delay_alu instid0(VALU_DEP_1) | instskip(SKIP_1) | instid1(VALU_DEP_4)
	v_lshlrev_b64_e32 v[26:27], 4, v[39:40]
	v_add_nc_u32_e32 v39, s7, v39
	v_add_co_u32 v22, vcc_lo, v30, v22
	s_wait_alu 0xfffd
	v_add_co_ci_u32_e32 v23, vcc_lo, v31, v23, vcc_lo
	s_delay_alu instid0(VALU_DEP_3) | instskip(SKIP_3) | instid1(VALU_DEP_3)
	v_lshlrev_b64_e32 v[28:29], 4, v[39:40]
	v_add_co_u32 v26, vcc_lo, v30, v26
	s_wait_alu 0xfffd
	v_add_co_ci_u32_e32 v27, vcc_lo, v31, v27, vcc_lo
	v_add_co_u32 v28, vcc_lo, v30, v28
	s_wait_alu 0xfffd
	v_add_co_ci_u32_e32 v29, vcc_lo, v31, v29, vcc_lo
	s_wait_dscnt 0x4
	global_store_b128 v[20:21], v[0:3], off
	s_wait_dscnt 0x3
	global_store_b128 v[24:25], v[4:7], off
	;; [unrolled: 2-line block ×5, first 2 shown]
	s_nop 0
	s_sendmsg sendmsg(MSG_DEALLOC_VGPRS)
	s_endpgm
	.section	.rodata,"a",@progbits
	.p2align	6, 0x0
	.amdhsa_kernel fft_rtc_back_len17_factors_17_wgs_120_tpt_1_dp_op_CI_CI_sbrc_z_xy_diag
		.amdhsa_group_segment_fixed_size 0
		.amdhsa_private_segment_fixed_size 64
		.amdhsa_kernarg_size 104
		.amdhsa_user_sgpr_count 2
		.amdhsa_user_sgpr_dispatch_ptr 0
		.amdhsa_user_sgpr_queue_ptr 0
		.amdhsa_user_sgpr_kernarg_segment_ptr 1
		.amdhsa_user_sgpr_dispatch_id 0
		.amdhsa_user_sgpr_private_segment_size 0
		.amdhsa_wavefront_size32 1
		.amdhsa_uses_dynamic_stack 0
		.amdhsa_enable_private_segment 1
		.amdhsa_system_sgpr_workgroup_id_x 1
		.amdhsa_system_sgpr_workgroup_id_y 0
		.amdhsa_system_sgpr_workgroup_id_z 0
		.amdhsa_system_sgpr_workgroup_info 0
		.amdhsa_system_vgpr_workitem_id 0
		.amdhsa_next_free_vgpr 256
		.amdhsa_next_free_sgpr 62
		.amdhsa_reserve_vcc 1
		.amdhsa_float_round_mode_32 0
		.amdhsa_float_round_mode_16_64 0
		.amdhsa_float_denorm_mode_32 3
		.amdhsa_float_denorm_mode_16_64 3
		.amdhsa_fp16_overflow 0
		.amdhsa_workgroup_processor_mode 1
		.amdhsa_memory_ordered 1
		.amdhsa_forward_progress 0
		.amdhsa_round_robin_scheduling 0
		.amdhsa_exception_fp_ieee_invalid_op 0
		.amdhsa_exception_fp_denorm_src 0
		.amdhsa_exception_fp_ieee_div_zero 0
		.amdhsa_exception_fp_ieee_overflow 0
		.amdhsa_exception_fp_ieee_underflow 0
		.amdhsa_exception_fp_ieee_inexact 0
		.amdhsa_exception_int_div_zero 0
	.end_amdhsa_kernel
	.text
.Lfunc_end0:
	.size	fft_rtc_back_len17_factors_17_wgs_120_tpt_1_dp_op_CI_CI_sbrc_z_xy_diag, .Lfunc_end0-fft_rtc_back_len17_factors_17_wgs_120_tpt_1_dp_op_CI_CI_sbrc_z_xy_diag
                                        ; -- End function
	.section	.AMDGPU.csdata,"",@progbits
; Kernel info:
; codeLenInByte = 9228
; NumSgprs: 64
; NumVgprs: 256
; ScratchSize: 64
; MemoryBound: 0
; FloatMode: 240
; IeeeMode: 1
; LDSByteSize: 0 bytes/workgroup (compile time only)
; SGPRBlocks: 7
; VGPRBlocks: 31
; NumSGPRsForWavesPerEU: 64
; NumVGPRsForWavesPerEU: 256
; Occupancy: 5
; WaveLimiterHint : 1
; COMPUTE_PGM_RSRC2:SCRATCH_EN: 1
; COMPUTE_PGM_RSRC2:USER_SGPR: 2
; COMPUTE_PGM_RSRC2:TRAP_HANDLER: 0
; COMPUTE_PGM_RSRC2:TGID_X_EN: 1
; COMPUTE_PGM_RSRC2:TGID_Y_EN: 0
; COMPUTE_PGM_RSRC2:TGID_Z_EN: 0
; COMPUTE_PGM_RSRC2:TIDIG_COMP_CNT: 0
	.text
	.p2alignl 7, 3214868480
	.fill 96, 4, 3214868480
	.type	__hip_cuid_aeb8a485c689eadc,@object ; @__hip_cuid_aeb8a485c689eadc
	.section	.bss,"aw",@nobits
	.globl	__hip_cuid_aeb8a485c689eadc
__hip_cuid_aeb8a485c689eadc:
	.byte	0                               ; 0x0
	.size	__hip_cuid_aeb8a485c689eadc, 1

	.ident	"AMD clang version 19.0.0git (https://github.com/RadeonOpenCompute/llvm-project roc-6.4.0 25133 c7fe45cf4b819c5991fe208aaa96edf142730f1d)"
	.section	".note.GNU-stack","",@progbits
	.addrsig
	.addrsig_sym __hip_cuid_aeb8a485c689eadc
	.amdgpu_metadata
---
amdhsa.kernels:
  - .args:
      - .actual_access:  read_only
        .address_space:  global
        .offset:         0
        .size:           8
        .value_kind:     global_buffer
      - .offset:         8
        .size:           8
        .value_kind:     by_value
      - .actual_access:  read_only
        .address_space:  global
        .offset:         16
        .size:           8
        .value_kind:     global_buffer
      - .actual_access:  read_only
        .address_space:  global
        .offset:         24
        .size:           8
        .value_kind:     global_buffer
      - .actual_access:  read_only
        .address_space:  global
        .offset:         32
        .size:           8
        .value_kind:     global_buffer
      - .offset:         40
        .size:           8
        .value_kind:     by_value
      - .actual_access:  read_only
        .address_space:  global
        .offset:         48
        .size:           8
        .value_kind:     global_buffer
      - .actual_access:  read_only
        .address_space:  global
        .offset:         56
        .size:           8
        .value_kind:     global_buffer
      - .offset:         64
        .size:           4
        .value_kind:     by_value
      - .actual_access:  read_only
        .address_space:  global
        .offset:         72
        .size:           8
        .value_kind:     global_buffer
      - .actual_access:  read_only
        .address_space:  global
        .offset:         80
        .size:           8
        .value_kind:     global_buffer
      - .actual_access:  read_only
        .address_space:  global
        .offset:         88
        .size:           8
        .value_kind:     global_buffer
      - .actual_access:  write_only
        .address_space:  global
        .offset:         96
        .size:           8
        .value_kind:     global_buffer
    .group_segment_fixed_size: 0
    .kernarg_segment_align: 8
    .kernarg_segment_size: 104
    .language:       OpenCL C
    .language_version:
      - 2
      - 0
    .max_flat_workgroup_size: 120
    .name:           fft_rtc_back_len17_factors_17_wgs_120_tpt_1_dp_op_CI_CI_sbrc_z_xy_diag
    .private_segment_fixed_size: 64
    .sgpr_count:     64
    .sgpr_spill_count: 0
    .symbol:         fft_rtc_back_len17_factors_17_wgs_120_tpt_1_dp_op_CI_CI_sbrc_z_xy_diag.kd
    .uniform_work_group_size: 1
    .uses_dynamic_stack: false
    .vgpr_count:     256
    .vgpr_spill_count: 15
    .wavefront_size: 32
    .workgroup_processor_mode: 1
amdhsa.target:   amdgcn-amd-amdhsa--gfx1201
amdhsa.version:
  - 1
  - 2
...

	.end_amdgpu_metadata
